;; amdgpu-corpus repo=ROCm/rocFFT kind=compiled arch=gfx950 opt=O3
	.text
	.amdgcn_target "amdgcn-amd-amdhsa--gfx950"
	.amdhsa_code_object_version 6
	.protected	bluestein_single_fwd_len121_dim1_dp_op_CI_CI ; -- Begin function bluestein_single_fwd_len121_dim1_dp_op_CI_CI
	.globl	bluestein_single_fwd_len121_dim1_dp_op_CI_CI
	.p2align	8
	.type	bluestein_single_fwd_len121_dim1_dp_op_CI_CI,@function
bluestein_single_fwd_len121_dim1_dp_op_CI_CI: ; @bluestein_single_fwd_len121_dim1_dp_op_CI_CI
; %bb.0:
	s_load_dwordx4 s[16:19], s[0:1], 0x28
	v_mul_u32_u24_e32 v1, 0x1746, v0
	v_lshrrev_b32_e32 v2, 16, v1
	v_mad_u64_u32 v[104:105], s[2:3], s2, 11, v[2:3]
	v_mov_b32_e32 v105, 0
	s_waitcnt lgkmcnt(0)
	v_cmp_gt_u64_e32 vcc, s[16:17], v[104:105]
	s_and_saveexec_b64 s[2:3], vcc
	s_cbranch_execz .LBB0_2
; %bb.1:
	s_load_dwordx4 s[4:7], s[0:1], 0x18
	s_load_dwordx4 s[8:11], s[0:1], 0x0
	v_mul_lo_u16_e32 v1, 11, v2
	v_sub_u16_e32 v150, v0, v1
	v_mov_b32_e32 v4, s18
	s_waitcnt lgkmcnt(0)
	s_load_dwordx4 s[12:15], s[4:5], 0x0
	v_mov_b32_e32 v5, s19
	v_mov_b32_e32 v105, 0xb0
	v_lshlrev_b32_e32 v152, 4, v150
	global_load_dwordx4 v[40:43], v152, s[8:9]
	s_waitcnt lgkmcnt(0)
	v_mad_u64_u32 v[0:1], s[2:3], s14, v104, 0
	v_mov_b32_e32 v2, v1
	v_mad_u64_u32 v[2:3], s[2:3], s15, v104, v[2:3]
	v_mov_b32_e32 v1, v2
	v_mad_u64_u32 v[2:3], s[2:3], s12, v150, 0
	v_mov_b32_e32 v6, v3
	v_mad_u64_u32 v[6:7], s[2:3], s13, v150, v[6:7]
	v_mov_b32_e32 v3, v6
	v_lshl_add_u64 v[0:1], v[0:1], 4, v[4:5]
	v_lshl_add_u64 v[0:1], v[2:3], 4, v[0:1]
	global_load_dwordx4 v[44:47], v[0:1], off
	v_mad_u64_u32 v[0:1], s[2:3], s12, v105, v[0:1]
	s_mul_i32 s2, s13, 0xb0
	s_nop 0
	v_add_u32_e32 v1, s2, v1
	global_load_dwordx4 v[32:35], v152, s[8:9] offset:176
	global_load_dwordx4 v[48:51], v[0:1], off
	v_mad_u64_u32 v[0:1], s[4:5], s12, v105, v[0:1]
	v_add_u32_e32 v1, s2, v1
	global_load_dwordx4 v[52:55], v[0:1], off
	global_load_dwordx4 v[8:11], v152, s[8:9] offset:352
	v_mad_u64_u32 v[0:1], s[4:5], s12, v105, v[0:1]
	v_add_u32_e32 v1, s2, v1
	global_load_dwordx4 v[36:39], v152, s[8:9] offset:528
	global_load_dwordx4 v[56:59], v[0:1], off
	v_mad_u64_u32 v[0:1], s[4:5], s12, v105, v[0:1]
	v_add_u32_e32 v1, s2, v1
	global_load_dwordx4 v[60:63], v[0:1], off
	global_load_dwordx4 v[12:15], v152, s[8:9] offset:704
	v_mad_u64_u32 v[0:1], s[4:5], s12, v105, v[0:1]
	v_add_u32_e32 v1, s2, v1
	global_load_dwordx4 v[64:67], v[0:1], off
	global_load_dwordx4 v[28:31], v152, s[8:9] offset:880
	;; [unrolled: 4-line block ×6, first 2 shown]
	v_mad_u64_u32 v[72:73], s[4:5], s12, v105, v[24:25]
	v_add_u32_e32 v73, s2, v73
	global_load_dwordx4 v[24:27], v152, s[8:9] offset:1760
	global_load_dwordx4 v[86:89], v[72:73], off
	s_mov_b32 s2, 0xba2e8ba3
	v_mul_hi_u32 v72, v104, s2
	v_lshrrev_b32_e32 v72, 3, v72
	v_mul_lo_u32 v72, v72, 11
	v_sub_u32_e32 v72, v104, v72
	v_mul_u32_u24_e32 v72, 0x79, v72
	v_lshlrev_b32_e32 v72, 4, v72
	v_add_u32_e32 v151, v152, v72
	s_load_dwordx4 s[4:7], s[6:7], 0x0
	s_mov_b32 s18, 0xf8bb580b
	s_mov_b32 s12, 0x8eee2c13
	;; [unrolled: 1-line block ×28, first 2 shown]
	v_mul_lo_u16_e32 v73, 11, v150
	s_waitcnt vmcnt(20)
	v_mul_f64 v[90:91], v[46:47], v[42:43]
	v_mul_f64 v[92:93], v[44:45], v[42:43]
	v_fmac_f64_e32 v[90:91], v[44:45], v[40:41]
	v_fma_f64 v[92:93], v[46:47], v[40:41], -v[92:93]
	ds_write_b128 v151, v[90:93]
	s_waitcnt vmcnt(18)
	v_mul_f64 v[44:45], v[50:51], v[34:35]
	v_mul_f64 v[46:47], v[48:49], v[34:35]
	v_fmac_f64_e32 v[44:45], v[48:49], v[32:33]
	v_fma_f64 v[46:47], v[50:51], v[32:33], -v[46:47]
	ds_write_b128 v151, v[44:47] offset:176
	s_waitcnt vmcnt(16)
	v_mul_f64 v[44:45], v[54:55], v[10:11]
	v_mul_f64 v[46:47], v[52:53], v[10:11]
	v_fmac_f64_e32 v[44:45], v[52:53], v[8:9]
	v_fma_f64 v[46:47], v[54:55], v[8:9], -v[46:47]
	ds_write_b128 v151, v[44:47] offset:352
	;; [unrolled: 6-line block ×10, first 2 shown]
	s_waitcnt lgkmcnt(0)
	s_barrier
	ds_read_b128 v[64:67], v151
	ds_read_b128 v[74:77], v151 offset:176
	ds_read_b128 v[78:81], v151 offset:352
	;; [unrolled: 1-line block ×10, first 2 shown]
	s_waitcnt lgkmcnt(9)
	v_add_f64 v[44:45], v[64:65], v[74:75]
	v_add_f64 v[46:47], v[66:67], v[76:77]
	s_waitcnt lgkmcnt(8)
	v_add_f64 v[44:45], v[44:45], v[78:79]
	v_add_f64 v[46:47], v[46:47], v[80:81]
	;; [unrolled: 3-line block ×8, first 2 shown]
	s_waitcnt lgkmcnt(1)
	v_add_f64 v[44:45], v[44:45], v[86:87]
	s_waitcnt lgkmcnt(0)
	v_add_f64 v[94:95], v[74:75], v[90:91]
	v_add_f64 v[96:97], v[76:77], v[92:93]
	v_add_f64 v[74:75], v[74:75], -v[90:91]
	v_add_f64 v[76:77], v[76:77], -v[92:93]
	v_add_f64 v[46:47], v[46:47], v[88:89]
	v_add_f64 v[44:45], v[44:45], v[90:91]
	v_mul_f64 v[90:91], v[76:77], s[18:19]
	v_mul_f64 v[98:99], v[74:75], s[18:19]
	;; [unrolled: 1-line block ×5, first 2 shown]
	v_add_f64 v[114:115], v[78:79], v[86:87]
	v_add_f64 v[78:79], v[78:79], -v[86:87]
	v_add_f64 v[86:87], v[68:69], v[82:83]
	v_add_f64 v[68:69], v[68:69], -v[82:83]
	v_mul_f64 v[82:83], v[76:77], s[22:23]
	v_mul_f64 v[76:77], v[76:77], s[26:27]
	;; [unrolled: 1-line block ×5, first 2 shown]
	v_add_f64 v[46:47], v[46:47], v[92:93]
	v_fma_f64 v[92:93], v[94:95], s[20:21], -v[90:91]
	v_fma_f64 v[100:101], s[20:21], v[96:97], v[98:99]
	v_fmac_f64_e32 v[90:91], s[20:21], v[94:95]
	v_fma_f64 v[98:99], v[96:97], s[20:21], -v[98:99]
	v_fma_f64 v[106:107], v[94:95], s[14:15], -v[102:103]
	v_fmac_f64_e32 v[102:103], s[14:15], v[94:95]
	v_fma_f64 v[112:113], v[94:95], s[16:17], -v[110:111]
	v_fmac_f64_e32 v[110:111], s[16:17], v[94:95]
	v_add_f64 v[116:117], v[80:81], v[88:89]
	v_add_f64 v[80:81], v[80:81], -v[88:89]
	v_add_f64 v[88:89], v[70:71], v[84:85]
	v_add_f64 v[70:71], v[70:71], -v[84:85]
	v_fma_f64 v[84:85], v[94:95], s[24:25], -v[82:83]
	v_fmac_f64_e32 v[82:83], s[24:25], v[94:95]
	v_fma_f64 v[118:119], v[94:95], s[30:31], -v[76:77]
	v_fmac_f64_e32 v[76:77], s[30:31], v[94:95]
	v_fma_f64 v[94:95], s[14:15], v[96:97], v[108:109]
	v_fma_f64 v[108:109], v[96:97], s[14:15], -v[108:109]
	v_fma_f64 v[122:123], s[16:17], v[96:97], v[120:121]
	v_fma_f64 v[120:121], v[96:97], s[16:17], -v[120:121]
	;; [unrolled: 2-line block ×4, first 2 shown]
	v_add_f64 v[96:97], v[66:67], v[100:101]
	v_add_f64 v[98:99], v[66:67], v[98:99]
	;; [unrolled: 1-line block ×12, first 2 shown]
	v_mul_f64 v[74:75], v[80:81], s[12:13]
	v_add_f64 v[92:93], v[64:65], v[92:93]
	v_add_f64 v[90:91], v[64:65], v[90:91]
	v_add_f64 v[102:103], v[64:65], v[102:103]
	v_add_f64 v[110:111], v[64:65], v[110:111]
	v_add_f64 v[84:85], v[64:65], v[84:85]
	v_add_f64 v[82:83], v[64:65], v[82:83]
	v_add_f64 v[118:119], v[64:65], v[118:119]
	v_add_f64 v[64:65], v[64:65], v[76:77]
	v_fma_f64 v[76:77], v[114:115], s[14:15], -v[74:75]
	v_add_f64 v[76:77], v[76:77], v[92:93]
	v_mul_f64 v[92:93], v[78:79], s[12:13]
	v_fmac_f64_e32 v[74:75], s[14:15], v[114:115]
	v_fma_f64 v[128:129], s[14:15], v[116:117], v[92:93]
	v_add_f64 v[74:75], v[74:75], v[90:91]
	v_fma_f64 v[90:91], v[116:117], s[14:15], -v[92:93]
	v_mul_f64 v[92:93], v[80:81], s[22:23]
	v_add_f64 v[90:91], v[90:91], v[98:99]
	v_fma_f64 v[98:99], v[114:115], s[24:25], -v[92:93]
	v_add_f64 v[98:99], v[98:99], v[100:101]
	v_mul_f64 v[100:101], v[78:79], s[22:23]
	v_fmac_f64_e32 v[92:93], s[24:25], v[114:115]
	v_add_f64 v[96:97], v[128:129], v[96:97]
	v_fma_f64 v[128:129], s[24:25], v[116:117], v[100:101]
	v_add_f64 v[92:93], v[92:93], v[102:103]
	v_fma_f64 v[100:101], v[116:117], s[24:25], -v[100:101]
	v_mul_f64 v[102:103], v[80:81], s[38:39]
	v_add_f64 v[100:101], v[100:101], v[106:107]
	v_fma_f64 v[106:107], v[114:115], s[30:31], -v[102:103]
	v_add_f64 v[106:107], v[106:107], v[108:109]
	v_mul_f64 v[108:109], v[78:79], s[38:39]
	v_fmac_f64_e32 v[102:103], s[30:31], v[114:115]
	v_add_f64 v[94:95], v[128:129], v[94:95]
	v_fma_f64 v[128:129], s[30:31], v[116:117], v[108:109]
	v_add_f64 v[102:103], v[102:103], v[110:111]
	v_fma_f64 v[108:109], v[116:117], s[30:31], -v[108:109]
	v_mul_f64 v[110:111], v[80:81], s[28:29]
	v_add_f64 v[108:109], v[108:109], v[120:121]
	v_fma_f64 v[120:121], v[114:115], s[16:17], -v[110:111]
	v_add_f64 v[84:85], v[120:121], v[84:85]
	v_mul_f64 v[120:121], v[78:79], s[28:29]
	v_fmac_f64_e32 v[110:111], s[16:17], v[114:115]
	v_mul_f64 v[80:81], v[80:81], s[36:37]
	v_add_f64 v[112:113], v[128:129], v[112:113]
	v_fma_f64 v[128:129], s[16:17], v[116:117], v[120:121]
	v_add_f64 v[82:83], v[110:111], v[82:83]
	v_fma_f64 v[110:111], v[116:117], s[16:17], -v[120:121]
	v_fma_f64 v[120:121], v[114:115], s[20:21], -v[80:81]
	v_mul_f64 v[78:79], v[78:79], s[36:37]
	v_add_f64 v[118:119], v[120:121], v[118:119]
	v_fma_f64 v[120:121], s[20:21], v[116:117], v[78:79]
	v_fma_f64 v[78:79], v[116:117], s[20:21], -v[78:79]
	v_fmac_f64_e32 v[80:81], s[20:21], v[114:115]
	v_add_f64 v[66:67], v[78:79], v[66:67]
	v_mul_f64 v[78:79], v[70:71], s[2:3]
	v_add_f64 v[64:65], v[80:81], v[64:65]
	v_fma_f64 v[80:81], v[86:87], s[16:17], -v[78:79]
	v_add_f64 v[76:77], v[80:81], v[76:77]
	v_mul_f64 v[80:81], v[68:69], s[2:3]
	v_fmac_f64_e32 v[78:79], s[16:17], v[86:87]
	v_fma_f64 v[114:115], s[16:17], v[88:89], v[80:81]
	v_add_f64 v[74:75], v[78:79], v[74:75]
	v_fma_f64 v[78:79], v[88:89], s[16:17], -v[80:81]
	v_mul_f64 v[80:81], v[70:71], s[38:39]
	v_add_f64 v[78:79], v[78:79], v[90:91]
	v_fma_f64 v[90:91], v[86:87], s[30:31], -v[80:81]
	v_add_f64 v[90:91], v[90:91], v[98:99]
	v_mul_f64 v[98:99], v[68:69], s[38:39]
	v_fmac_f64_e32 v[80:81], s[30:31], v[86:87]
	v_add_f64 v[96:97], v[114:115], v[96:97]
	v_fma_f64 v[114:115], s[30:31], v[88:89], v[98:99]
	v_add_f64 v[80:81], v[80:81], v[92:93]
	v_fma_f64 v[92:93], v[88:89], s[30:31], -v[98:99]
	v_mul_f64 v[98:99], v[70:71], s[34:35]
	v_add_f64 v[92:93], v[92:93], v[100:101]
	v_fma_f64 v[100:101], v[86:87], s[14:15], -v[98:99]
	v_add_f64 v[100:101], v[100:101], v[106:107]
	v_mul_f64 v[106:107], v[68:69], s[34:35]
	v_fmac_f64_e32 v[98:99], s[14:15], v[86:87]
	v_add_f64 v[94:95], v[114:115], v[94:95]
	v_fma_f64 v[114:115], s[14:15], v[88:89], v[106:107]
	v_add_f64 v[98:99], v[98:99], v[102:103]
	v_fma_f64 v[102:103], v[88:89], s[14:15], -v[106:107]
	v_mul_f64 v[106:107], v[70:71], s[18:19]
	v_add_f64 v[102:103], v[102:103], v[108:109]
	v_fma_f64 v[108:109], v[86:87], s[20:21], -v[106:107]
	v_add_f64 v[84:85], v[108:109], v[84:85]
	v_mul_f64 v[108:109], v[68:69], s[18:19]
	v_fmac_f64_e32 v[106:107], s[20:21], v[86:87]
	v_mul_f64 v[70:71], v[70:71], s[22:23]
	v_add_f64 v[110:111], v[110:111], v[124:125]
	v_add_f64 v[112:113], v[114:115], v[112:113]
	v_fma_f64 v[114:115], s[20:21], v[88:89], v[108:109]
	v_add_f64 v[82:83], v[106:107], v[82:83]
	v_fma_f64 v[106:107], v[88:89], s[20:21], -v[108:109]
	v_fma_f64 v[108:109], v[86:87], s[24:25], -v[70:71]
	v_mul_f64 v[68:69], v[68:69], s[22:23]
	v_fmac_f64_e32 v[70:71], s[24:25], v[86:87]
	v_add_f64 v[106:107], v[106:107], v[110:111]
	v_fma_f64 v[110:111], s[24:25], v[88:89], v[68:69]
	v_add_f64 v[64:65], v[70:71], v[64:65]
	v_fma_f64 v[68:69], v[88:89], s[24:25], -v[68:69]
	v_add_f64 v[70:71], v[58:59], v[62:63]
	v_add_f64 v[58:59], v[58:59], -v[62:63]
	v_add_f64 v[66:67], v[68:69], v[66:67]
	v_add_f64 v[68:69], v[56:57], v[60:61]
	v_add_f64 v[56:57], v[56:57], -v[60:61]
	v_mul_f64 v[60:61], v[58:59], s[22:23]
	v_fma_f64 v[62:63], v[68:69], s[24:25], -v[60:61]
	v_add_f64 v[62:63], v[62:63], v[76:77]
	v_mul_f64 v[76:77], v[56:57], s[22:23]
	v_fmac_f64_e32 v[60:61], s[24:25], v[68:69]
	v_fma_f64 v[86:87], s[24:25], v[70:71], v[76:77]
	v_add_f64 v[60:61], v[60:61], v[74:75]
	v_fma_f64 v[74:75], v[70:71], s[24:25], -v[76:77]
	v_mul_f64 v[76:77], v[58:59], s[28:29]
	v_add_f64 v[74:75], v[74:75], v[78:79]
	v_fma_f64 v[78:79], v[68:69], s[16:17], -v[76:77]
	v_mul_f64 v[88:89], v[56:57], s[28:29]
	v_fmac_f64_e32 v[76:77], s[16:17], v[68:69]
	v_add_f64 v[78:79], v[78:79], v[90:91]
	v_fma_f64 v[90:91], s[16:17], v[70:71], v[88:89]
	v_add_f64 v[76:77], v[76:77], v[80:81]
	v_fma_f64 v[80:81], v[70:71], s[16:17], -v[88:89]
	v_mul_f64 v[88:89], v[58:59], s[18:19]
	v_add_f64 v[80:81], v[80:81], v[92:93]
	v_fma_f64 v[92:93], v[68:69], s[20:21], -v[88:89]
	v_fmac_f64_e32 v[88:89], s[20:21], v[68:69]
	v_add_f64 v[90:91], v[90:91], v[94:95]
	v_mul_f64 v[94:95], v[56:57], s[18:19]
	v_add_f64 v[88:89], v[88:89], v[98:99]
	v_mul_f64 v[98:99], v[58:59], s[26:27]
	v_add_f64 v[108:109], v[108:109], v[118:119]
	v_add_f64 v[86:87], v[86:87], v[96:97]
	;; [unrolled: 1-line block ×3, first 2 shown]
	v_fma_f64 v[96:97], s[20:21], v[70:71], v[94:95]
	v_fma_f64 v[100:101], v[68:69], s[30:31], -v[98:99]
	v_add_f64 v[118:119], v[50:51], -v[54:55]
	v_add_f64 v[96:97], v[96:97], v[112:113]
	v_add_f64 v[84:85], v[100:101], v[84:85]
	v_mul_f64 v[100:101], v[56:57], s[26:27]
	v_fmac_f64_e32 v[98:99], s[30:31], v[68:69]
	v_add_f64 v[112:113], v[48:49], v[52:53]
	v_add_f64 v[116:117], v[48:49], -v[52:53]
	v_mul_f64 v[52:53], v[118:119], s[26:27]
	v_add_f64 v[122:123], v[128:129], v[122:123]
	v_add_f64 v[120:121], v[120:121], v[126:127]
	v_fma_f64 v[94:95], v[70:71], s[20:21], -v[94:95]
	v_add_f64 v[82:83], v[98:99], v[82:83]
	v_fma_f64 v[98:99], v[70:71], s[30:31], -v[100:101]
	v_mul_f64 v[56:57], v[56:57], s[34:35]
	v_fma_f64 v[48:49], v[112:113], s[30:31], -v[52:53]
	v_fmac_f64_e32 v[52:53], s[30:31], v[112:113]
	v_add_f64 v[114:115], v[114:115], v[122:123]
	v_add_f64 v[110:111], v[110:111], v[120:121]
	;; [unrolled: 1-line block ×3, first 2 shown]
	v_fma_f64 v[102:103], s[30:31], v[70:71], v[100:101]
	v_add_f64 v[98:99], v[98:99], v[106:107]
	v_mul_f64 v[58:59], v[58:59], s[34:35]
	v_fma_f64 v[106:107], s[14:15], v[70:71], v[56:57]
	v_fma_f64 v[56:57], v[70:71], s[14:15], -v[56:57]
	v_add_f64 v[52:53], v[52:53], v[60:61]
	v_mul_f64 v[60:61], v[118:119], s[36:37]
	v_add_f64 v[102:103], v[102:103], v[114:115]
	v_fma_f64 v[100:101], v[68:69], s[14:15], -v[58:59]
	v_add_f64 v[106:107], v[106:107], v[110:111]
	v_fmac_f64_e32 v[58:59], s[14:15], v[68:69]
	v_add_f64 v[110:111], v[56:57], v[66:67]
	v_add_f64 v[114:115], v[50:51], v[54:55]
	;; [unrolled: 1-line block ×3, first 2 shown]
	v_mul_f64 v[54:55], v[116:117], s[26:27]
	v_fma_f64 v[56:57], v[112:113], s[20:21], -v[60:61]
	v_mul_f64 v[62:63], v[116:117], s[36:37]
	v_mul_f64 v[68:69], v[118:119], s[22:23]
	v_add_f64 v[100:101], v[100:101], v[108:109]
	v_add_f64 v[108:109], v[58:59], v[64:65]
	v_fma_f64 v[50:51], s[30:31], v[114:115], v[54:55]
	v_fma_f64 v[54:55], v[114:115], s[30:31], -v[54:55]
	v_add_f64 v[56:57], v[56:57], v[78:79]
	v_fma_f64 v[58:59], s[20:21], v[114:115], v[62:63]
	v_fma_f64 v[62:63], v[114:115], s[20:21], -v[62:63]
	v_fma_f64 v[64:65], v[112:113], s[24:25], -v[68:69]
	v_fmac_f64_e32 v[68:69], s[24:25], v[112:113]
	v_mul_f64 v[78:79], v[118:119], s[34:35]
	v_add_f64 v[50:51], v[50:51], v[86:87]
	v_add_f64 v[54:55], v[54:55], v[74:75]
	v_fmac_f64_e32 v[60:61], s[20:21], v[112:113]
	v_add_f64 v[62:63], v[62:63], v[80:81]
	v_mul_f64 v[70:71], v[116:117], s[22:23]
	v_add_f64 v[68:69], v[68:69], v[88:89]
	v_fma_f64 v[74:75], v[112:113], s[14:15], -v[78:79]
	v_mul_f64 v[80:81], v[116:117], s[34:35]
	v_fmac_f64_e32 v[78:79], s[14:15], v[112:113]
	v_mul_f64 v[86:87], v[118:119], s[2:3]
	v_mul_f64 v[88:89], v[116:117], s[2:3]
	v_add_f64 v[60:61], v[60:61], v[76:77]
	v_fma_f64 v[66:67], s[24:25], v[114:115], v[70:71]
	v_fma_f64 v[70:71], v[114:115], s[24:25], -v[70:71]
	v_add_f64 v[74:75], v[74:75], v[84:85]
	v_fma_f64 v[76:77], s[14:15], v[114:115], v[80:81]
	v_add_f64 v[78:79], v[78:79], v[82:83]
	v_fma_f64 v[80:81], v[114:115], s[14:15], -v[80:81]
	v_fma_f64 v[82:83], v[112:113], s[16:17], -v[86:87]
	v_fma_f64 v[84:85], s[16:17], v[114:115], v[88:89]
	v_fmac_f64_e32 v[86:87], s[16:17], v[112:113]
	v_fma_f64 v[88:89], v[114:115], s[16:17], -v[88:89]
	v_lshl_add_u32 v153, v73, 4, v72
	v_add_f64 v[58:59], v[58:59], v[90:91]
	v_add_f64 v[64:65], v[64:65], v[92:93]
	;; [unrolled: 1-line block ×10, first 2 shown]
	s_barrier
	ds_write_b128 v153, v[44:47]
	ds_write_b128 v153, v[48:51] offset:16
	ds_write_b128 v153, v[56:59] offset:32
	;; [unrolled: 1-line block ×10, first 2 shown]
	v_mul_u32_u24_e32 v44, 10, v150
	v_lshlrev_b32_e32 v84, 4, v44
	s_waitcnt lgkmcnt(0)
	s_barrier
	global_load_dwordx4 v[56:59], v84, s[10:11]
	global_load_dwordx4 v[52:55], v84, s[10:11] offset:16
	global_load_dwordx4 v[48:51], v84, s[10:11] offset:32
	;; [unrolled: 1-line block ×9, first 2 shown]
	ds_read_b128 v[84:87], v151 offset:176
	ds_read_b128 v[88:91], v151 offset:352
	;; [unrolled: 1-line block ×9, first 2 shown]
	ds_read_b128 v[154:157], v151
	s_load_dwordx2 s[0:1], s[0:1], 0x38
	s_waitcnt vmcnt(9) lgkmcnt(0)
	v_mul_f64 v[122:123], v[86:87], v[58:59]
	v_fma_f64 v[126:127], v[84:85], v[56:57], -v[122:123]
	v_mul_f64 v[128:129], v[84:85], v[58:59]
	s_waitcnt vmcnt(8)
	v_mul_f64 v[84:85], v[90:91], v[54:55]
	v_fma_f64 v[130:131], v[88:89], v[52:53], -v[84:85]
	s_waitcnt vmcnt(7)
	v_mul_f64 v[84:85], v[94:95], v[50:51]
	v_fma_f64 v[158:159], v[92:93], v[48:49], -v[84:85]
	s_waitcnt vmcnt(6)
	v_mul_f64 v[84:85], v[98:99], v[46:47]
	v_mul_f64 v[138:139], v[88:89], v[54:55]
	v_fma_f64 v[140:141], v[96:97], v[44:45], -v[84:85]
	s_waitcnt vmcnt(5)
	v_mul_f64 v[84:85], v[102:103], v[74:75]
	v_fmac_f64_e32 v[138:139], v[90:91], v[52:53]
	v_fma_f64 v[90:91], v[100:101], v[72:73], -v[84:85]
	s_waitcnt vmcnt(4)
	v_mul_f64 v[84:85], v[108:109], v[70:71]
	v_fma_f64 v[124:125], v[106:107], v[68:69], -v[84:85]
	s_waitcnt vmcnt(3)
	v_mul_f64 v[84:85], v[112:113], v[66:67]
	v_fma_f64 v[162:163], v[110:111], v[64:65], -v[84:85]
	s_waitcnt vmcnt(2)
	v_mul_f64 v[84:85], v[116:117], v[62:63]
	v_fmac_f64_e32 v[128:129], v[86:87], v[56:57]
	v_fma_f64 v[164:165], v[114:115], v[60:61], -v[84:85]
	ds_read_b128 v[84:87], v151 offset:1760
	v_mul_f64 v[160:161], v[92:93], v[50:51]
	v_fmac_f64_e32 v[160:161], v[94:95], v[48:49]
	v_mul_f64 v[142:143], v[96:97], v[46:47]
	s_waitcnt vmcnt(1)
	v_mul_f64 v[92:93], v[120:121], v[78:79]
	s_waitcnt vmcnt(0) lgkmcnt(0)
	v_mul_f64 v[94:95], v[84:85], v[82:83]
	v_fmac_f64_e32 v[142:143], v[98:99], v[44:45]
	v_fma_f64 v[98:99], v[118:119], v[76:77], -v[92:93]
	v_mul_f64 v[92:93], v[86:87], v[82:83]
	v_fmac_f64_e32 v[94:95], v[86:87], v[80:81]
	v_add_f64 v[86:87], v[156:157], v[128:129]
	v_fma_f64 v[92:93], v[84:85], v[80:81], -v[92:93]
	v_add_f64 v[84:85], v[154:155], v[126:127]
	v_add_f64 v[86:87], v[86:87], v[138:139]
	v_mul_f64 v[88:89], v[100:101], v[74:75]
	v_add_f64 v[84:85], v[84:85], v[130:131]
	v_add_f64 v[86:87], v[86:87], v[160:161]
	v_fmac_f64_e32 v[88:89], v[102:103], v[72:73]
	v_mul_f64 v[122:123], v[106:107], v[70:71]
	v_add_f64 v[84:85], v[84:85], v[158:159]
	v_add_f64 v[86:87], v[86:87], v[142:143]
	v_fmac_f64_e32 v[122:123], v[108:109], v[68:69]
	v_mul_f64 v[146:147], v[110:111], v[66:67]
	v_add_f64 v[84:85], v[84:85], v[140:141]
	v_add_f64 v[86:87], v[86:87], v[88:89]
	v_fmac_f64_e32 v[146:147], v[112:113], v[64:65]
	v_mul_f64 v[166:167], v[114:115], v[62:63]
	v_add_f64 v[84:85], v[84:85], v[90:91]
	v_add_f64 v[86:87], v[86:87], v[122:123]
	v_fmac_f64_e32 v[166:167], v[116:117], v[60:61]
	v_mul_f64 v[108:109], v[118:119], v[78:79]
	v_add_f64 v[84:85], v[84:85], v[124:125]
	v_add_f64 v[86:87], v[86:87], v[146:147]
	v_fmac_f64_e32 v[108:109], v[120:121], v[76:77]
	v_add_f64 v[84:85], v[84:85], v[162:163]
	v_add_f64 v[86:87], v[86:87], v[166:167]
	;; [unrolled: 1-line block ×7, first 2 shown]
	v_add_f64 v[94:95], v[128:129], -v[94:95]
	v_add_f64 v[84:85], v[84:85], v[92:93]
	v_add_f64 v[96:97], v[126:127], v[92:93]
	v_add_f64 v[92:93], v[126:127], -v[92:93]
	v_mul_f64 v[102:103], v[94:95], s[18:19]
	v_mul_f64 v[110:111], v[94:95], s[12:13]
	;; [unrolled: 1-line block ×5, first 2 shown]
	v_fma_f64 v[106:107], v[96:97], s[20:21], -v[102:103]
	v_fmac_f64_e32 v[102:103], s[20:21], v[96:97]
	v_fma_f64 v[112:113], v[96:97], s[14:15], -v[110:111]
	v_fmac_f64_e32 v[110:111], s[14:15], v[96:97]
	;; [unrolled: 2-line block ×5, first 2 shown]
	v_mul_f64 v[96:97], v[92:93], s[18:19]
	v_fma_f64 v[120:121], s[20:21], v[100:101], v[96:97]
	v_fma_f64 v[96:97], v[100:101], s[20:21], -v[96:97]
	v_mul_f64 v[128:129], v[92:93], s[12:13]
	v_mul_f64 v[134:135], v[92:93], s[2:3]
	v_fma_f64 v[132:133], s[14:15], v[100:101], v[128:129]
	v_fma_f64 v[170:171], s[16:17], v[100:101], v[134:135]
	v_fma_f64 v[172:173], v[100:101], s[16:17], -v[134:135]
	v_mul_f64 v[134:135], v[92:93], s[22:23]
	v_mul_f64 v[92:93], v[92:93], s[26:27]
	v_add_f64 v[180:181], v[154:155], v[106:107]
	v_add_f64 v[186:187], v[156:157], v[96:97]
	;; [unrolled: 1-line block ×3, first 2 shown]
	v_add_f64 v[106:107], v[130:131], -v[98:99]
	v_add_f64 v[98:99], v[138:139], v[108:109]
	v_add_f64 v[108:109], v[138:139], -v[108:109]
	v_fma_f64 v[128:129], v[100:101], s[14:15], -v[128:129]
	v_fma_f64 v[174:175], s[24:25], v[100:101], v[134:135]
	v_fma_f64 v[176:177], v[100:101], s[24:25], -v[134:135]
	v_fma_f64 v[178:179], s[30:31], v[100:101], v[92:93]
	v_fma_f64 v[92:93], v[100:101], s[30:31], -v[92:93]
	v_add_f64 v[182:183], v[156:157], v[120:121]
	v_add_f64 v[184:185], v[154:155], v[102:103]
	;; [unrolled: 1-line block ×11, first 2 shown]
	v_mul_f64 v[154:155], v[108:109], s[12:13]
	v_add_f64 v[144:145], v[156:157], v[128:129]
	v_add_f64 v[134:135], v[156:157], v[170:171]
	;; [unrolled: 1-line block ×7, first 2 shown]
	v_fma_f64 v[114:115], v[96:97], s[14:15], -v[154:155]
	v_mul_f64 v[156:157], v[106:107], s[12:13]
	v_add_f64 v[138:139], v[114:115], v[180:181]
	v_fma_f64 v[114:115], s[14:15], v[98:99], v[156:157]
	v_add_f64 v[130:131], v[160:161], -v[166:167]
	v_add_f64 v[168:169], v[114:115], v[182:183]
	v_add_f64 v[114:115], v[158:159], v[164:165]
	v_add_f64 v[126:127], v[158:159], -v[164:165]
	v_mul_f64 v[158:159], v[130:131], s[2:3]
	v_add_f64 v[116:117], v[160:161], v[166:167]
	v_fma_f64 v[160:161], v[114:115], s[16:17], -v[158:159]
	v_mul_f64 v[164:165], v[126:127], s[2:3]
	v_add_f64 v[160:161], v[160:161], v[138:139]
	v_fma_f64 v[138:139], s[16:17], v[116:117], v[164:165]
	v_add_f64 v[166:167], v[138:139], v[168:169]
	v_add_f64 v[168:169], v[142:143], -v[146:147]
	v_add_f64 v[138:139], v[140:141], v[162:163]
	v_add_f64 v[162:163], v[140:141], -v[162:163]
	v_add_f64 v[140:141], v[142:143], v[146:147]
	v_mul_f64 v[142:143], v[168:169], s[22:23]
	v_fma_f64 v[146:147], v[138:139], s[24:25], -v[142:143]
	v_add_f64 v[146:147], v[146:147], v[160:161]
	v_mul_f64 v[160:161], v[162:163], s[22:23]
	v_fma_f64 v[170:171], s[24:25], v[140:141], v[160:161]
	v_add_f64 v[176:177], v[88:89], -v[122:123]
	v_add_f64 v[166:167], v[170:171], v[166:167]
	v_add_f64 v[170:171], v[90:91], v[124:125]
	;; [unrolled: 1-line block ×3, first 2 shown]
	v_mul_f64 v[88:89], v[176:177], s[26:27]
	v_add_f64 v[172:173], v[90:91], -v[124:125]
	v_fma_f64 v[90:91], v[170:171], s[30:31], -v[88:89]
	v_fmac_f64_e32 v[154:155], s[14:15], v[96:97]
	v_add_f64 v[122:123], v[90:91], v[146:147]
	v_add_f64 v[146:147], v[154:155], v[184:185]
	v_fma_f64 v[154:155], v[98:99], s[14:15], -v[156:157]
	v_fmac_f64_e32 v[158:159], s[16:17], v[114:115]
	v_add_f64 v[154:155], v[154:155], v[186:187]
	v_add_f64 v[146:147], v[158:159], v[146:147]
	v_fma_f64 v[156:157], v[116:117], s[16:17], -v[164:165]
	v_fmac_f64_e32 v[142:143], s[24:25], v[138:139]
	v_mul_f64 v[90:91], v[172:173], s[26:27]
	v_add_f64 v[154:155], v[156:157], v[154:155]
	v_add_f64 v[142:143], v[142:143], v[146:147]
	v_fma_f64 v[146:147], v[140:141], s[24:25], -v[160:161]
	v_fmac_f64_e32 v[88:89], s[30:31], v[170:171]
	v_fma_f64 v[124:125], s[30:31], v[174:175], v[90:91]
	v_add_f64 v[146:147], v[146:147], v[154:155]
	v_add_f64 v[88:89], v[88:89], v[142:143]
	v_fma_f64 v[90:91], v[174:175], s[30:31], -v[90:91]
	v_mul_f64 v[142:143], v[108:109], s[22:23]
	v_add_f64 v[90:91], v[90:91], v[146:147]
	v_fma_f64 v[146:147], v[96:97], s[24:25], -v[142:143]
	v_mul_f64 v[158:159], v[106:107], s[22:23]
	v_mul_f64 v[160:161], v[130:131], s[38:39]
	v_add_f64 v[146:147], v[146:147], v[188:189]
	v_fma_f64 v[154:155], s[24:25], v[98:99], v[158:159]
	v_fma_f64 v[156:157], v[114:115], s[30:31], -v[160:161]
	v_mul_f64 v[164:165], v[126:127], s[38:39]
	v_add_f64 v[124:125], v[124:125], v[166:167]
	v_add_f64 v[154:155], v[154:155], v[190:191]
	;; [unrolled: 1-line block ×3, first 2 shown]
	v_fma_f64 v[156:157], s[30:31], v[116:117], v[164:165]
	v_mul_f64 v[166:167], v[168:169], s[28:29]
	v_add_f64 v[154:155], v[156:157], v[154:155]
	v_fma_f64 v[156:157], v[138:139], s[16:17], -v[166:167]
	v_mul_f64 v[178:179], v[162:163], s[28:29]
	v_fmac_f64_e32 v[142:143], s[24:25], v[96:97]
	v_add_f64 v[146:147], v[156:157], v[146:147]
	v_fma_f64 v[156:157], s[16:17], v[140:141], v[178:179]
	v_mul_f64 v[180:181], v[176:177], s[36:37]
	v_add_f64 v[142:143], v[142:143], v[148:149]
	v_fma_f64 v[148:149], v[98:99], s[24:25], -v[158:159]
	v_add_f64 v[156:157], v[156:157], v[154:155]
	v_fma_f64 v[154:155], v[170:171], s[20:21], -v[180:181]
	;; [unrolled: 2-line block ×3, first 2 shown]
	v_add_f64 v[154:155], v[154:155], v[146:147]
	v_mul_f64 v[146:147], v[172:173], s[36:37]
	v_add_f64 v[144:145], v[148:149], v[144:145]
	v_fma_f64 v[148:149], v[140:141], s[16:17], -v[178:179]
	v_fma_f64 v[182:183], s[20:21], v[174:175], v[146:147]
	v_add_f64 v[144:145], v[148:149], v[144:145]
	v_fma_f64 v[146:147], v[174:175], s[20:21], -v[146:147]
	v_add_f64 v[144:145], v[146:147], v[144:145]
	v_mul_f64 v[146:147], v[108:109], s[38:39]
	v_fma_f64 v[148:149], v[96:97], s[30:31], -v[146:147]
	v_add_f64 v[136:137], v[148:149], v[136:137]
	v_mul_f64 v[148:149], v[106:107], s[38:39]
	v_fma_f64 v[158:159], s[30:31], v[98:99], v[148:149]
	v_fmac_f64_e32 v[160:161], s[30:31], v[114:115]
	v_add_f64 v[134:135], v[158:159], v[134:135]
	v_mul_f64 v[158:159], v[130:131], s[34:35]
	v_add_f64 v[142:143], v[160:161], v[142:143]
	v_fma_f64 v[160:161], v[114:115], s[14:15], -v[158:159]
	v_add_f64 v[136:137], v[160:161], v[136:137]
	v_mul_f64 v[160:161], v[126:127], s[34:35]
	v_fma_f64 v[164:165], s[14:15], v[116:117], v[160:161]
	v_fmac_f64_e32 v[166:167], s[16:17], v[138:139]
	v_add_f64 v[134:135], v[164:165], v[134:135]
	v_mul_f64 v[164:165], v[168:169], s[18:19]
	v_add_f64 v[142:143], v[166:167], v[142:143]
	v_fma_f64 v[166:167], v[138:139], s[20:21], -v[164:165]
	v_fmac_f64_e32 v[146:147], s[30:31], v[96:97]
	v_fmac_f64_e32 v[180:181], s[20:21], v[170:171]
	v_add_f64 v[136:137], v[166:167], v[136:137]
	v_mul_f64 v[166:167], v[162:163], s[18:19]
	v_add_f64 v[132:133], v[146:147], v[132:133]
	v_fma_f64 v[146:147], v[98:99], s[30:31], -v[148:149]
	v_fmac_f64_e32 v[158:159], s[14:15], v[114:115]
	v_add_f64 v[142:143], v[180:181], v[142:143]
	v_fma_f64 v[178:179], s[20:21], v[140:141], v[166:167]
	v_mul_f64 v[180:181], v[176:177], s[22:23]
	v_add_f64 v[128:129], v[146:147], v[128:129]
	v_add_f64 v[132:133], v[158:159], v[132:133]
	v_fma_f64 v[146:147], v[116:117], s[14:15], -v[160:161]
	v_fmac_f64_e32 v[164:165], s[20:21], v[138:139]
	v_add_f64 v[156:157], v[182:183], v[156:157]
	v_add_f64 v[178:179], v[178:179], v[134:135]
	v_fma_f64 v[134:135], v[170:171], s[24:25], -v[180:181]
	v_mul_f64 v[182:183], v[172:173], s[22:23]
	v_add_f64 v[128:129], v[146:147], v[128:129]
	v_add_f64 v[132:133], v[164:165], v[132:133]
	v_fma_f64 v[146:147], v[140:141], s[20:21], -v[166:167]
	v_fmac_f64_e32 v[180:181], s[24:25], v[170:171]
	v_add_f64 v[128:129], v[146:147], v[128:129]
	v_add_f64 v[146:147], v[180:181], v[132:133]
	v_fma_f64 v[132:133], v[174:175], s[24:25], -v[182:183]
	v_add_f64 v[148:149], v[132:133], v[128:129]
	v_mul_f64 v[128:129], v[108:109], s[28:29]
	v_fma_f64 v[132:133], v[96:97], s[16:17], -v[128:129]
	v_add_f64 v[120:121], v[132:133], v[120:121]
	v_mul_f64 v[132:133], v[106:107], s[28:29]
	v_fma_f64 v[158:159], s[16:17], v[98:99], v[132:133]
	v_add_f64 v[118:119], v[158:159], v[118:119]
	v_mul_f64 v[158:159], v[130:131], s[18:19]
	v_fma_f64 v[160:161], v[114:115], s[20:21], -v[158:159]
	v_add_f64 v[120:121], v[160:161], v[120:121]
	v_mul_f64 v[160:161], v[126:127], s[18:19]
	v_fma_f64 v[164:165], s[20:21], v[116:117], v[160:161]
	v_add_f64 v[118:119], v[164:165], v[118:119]
	v_mul_f64 v[164:165], v[168:169], s[26:27]
	v_fma_f64 v[166:167], v[138:139], s[30:31], -v[164:165]
	v_fmac_f64_e32 v[128:129], s[16:17], v[96:97]
	v_add_f64 v[134:135], v[134:135], v[136:137]
	v_fma_f64 v[136:137], s[24:25], v[174:175], v[182:183]
	v_add_f64 v[120:121], v[166:167], v[120:121]
	v_mul_f64 v[166:167], v[162:163], s[26:27]
	v_add_f64 v[112:113], v[128:129], v[112:113]
	v_fma_f64 v[128:129], v[98:99], s[16:17], -v[132:133]
	v_fmac_f64_e32 v[158:159], s[20:21], v[114:115]
	v_add_f64 v[136:137], v[136:137], v[178:179]
	v_fma_f64 v[178:179], s[30:31], v[140:141], v[166:167]
	v_mul_f64 v[180:181], v[176:177], s[34:35]
	v_add_f64 v[110:111], v[128:129], v[110:111]
	v_add_f64 v[112:113], v[158:159], v[112:113]
	v_fma_f64 v[128:129], v[116:117], s[20:21], -v[160:161]
	v_fmac_f64_e32 v[164:165], s[30:31], v[138:139]
	v_add_f64 v[178:179], v[178:179], v[118:119]
	v_fma_f64 v[118:119], v[170:171], s[14:15], -v[180:181]
	v_mul_f64 v[182:183], v[172:173], s[34:35]
	v_add_f64 v[110:111], v[128:129], v[110:111]
	v_add_f64 v[112:113], v[164:165], v[112:113]
	v_fma_f64 v[128:129], v[140:141], s[30:31], -v[166:167]
	v_fmac_f64_e32 v[180:181], s[14:15], v[170:171]
	v_add_f64 v[128:129], v[128:129], v[110:111]
	v_add_f64 v[110:111], v[180:181], v[112:113]
	v_fma_f64 v[112:113], v[174:175], s[14:15], -v[182:183]
	v_mul_f64 v[108:109], v[108:109], s[36:37]
	v_add_f64 v[112:113], v[112:113], v[128:129]
	v_fma_f64 v[128:129], v[96:97], s[20:21], -v[108:109]
	v_mul_f64 v[106:107], v[106:107], s[36:37]
	v_add_f64 v[102:103], v[128:129], v[102:103]
	v_fma_f64 v[128:129], s[20:21], v[98:99], v[106:107]
	v_add_f64 v[100:101], v[128:129], v[100:101]
	v_mul_f64 v[128:129], v[130:131], s[22:23]
	v_fma_f64 v[130:131], v[114:115], s[24:25], -v[128:129]
	v_mul_f64 v[126:127], v[126:127], s[22:23]
	v_add_f64 v[102:103], v[130:131], v[102:103]
	v_fma_f64 v[130:131], s[24:25], v[116:117], v[126:127]
	v_add_f64 v[100:101], v[130:131], v[100:101]
	v_mul_f64 v[130:131], v[168:169], s[34:35]
	v_fma_f64 v[132:133], v[138:139], s[14:15], -v[130:131]
	v_add_f64 v[102:103], v[132:133], v[102:103]
	v_mul_f64 v[132:133], v[162:163], s[34:35]
	v_fmac_f64_e32 v[108:109], s[20:21], v[96:97]
	v_fma_f64 v[96:97], v[98:99], s[20:21], -v[106:107]
	v_fma_f64 v[158:159], s[14:15], v[140:141], v[132:133]
	v_mul_f64 v[160:161], v[176:177], s[2:3]
	v_add_f64 v[94:95], v[108:109], v[94:95]
	v_add_f64 v[92:93], v[96:97], v[92:93]
	v_fmac_f64_e32 v[128:129], s[24:25], v[114:115]
	v_fma_f64 v[96:97], v[116:117], s[24:25], -v[126:127]
	v_add_f64 v[158:159], v[158:159], v[100:101]
	v_fma_f64 v[100:101], v[170:171], s[16:17], -v[160:161]
	v_mul_f64 v[162:163], v[172:173], s[2:3]
	v_add_f64 v[94:95], v[128:129], v[94:95]
	v_add_f64 v[92:93], v[96:97], v[92:93]
	v_fmac_f64_e32 v[130:131], s[14:15], v[138:139]
	v_fma_f64 v[96:97], v[140:141], s[14:15], -v[132:133]
	v_add_f64 v[118:119], v[118:119], v[120:121]
	v_fma_f64 v[120:121], s[14:15], v[174:175], v[182:183]
	v_add_f64 v[100:101], v[100:101], v[102:103]
	v_fma_f64 v[102:103], s[16:17], v[174:175], v[162:163]
	v_add_f64 v[94:95], v[130:131], v[94:95]
	v_add_f64 v[96:97], v[96:97], v[92:93]
	v_fmac_f64_e32 v[160:161], s[16:17], v[170:171]
	v_fma_f64 v[98:99], v[174:175], s[16:17], -v[162:163]
	v_add_f64 v[120:121], v[120:121], v[178:179]
	v_add_f64 v[102:103], v[102:103], v[158:159]
	;; [unrolled: 1-line block ×4, first 2 shown]
	ds_write_b128 v151, v[84:87]
	ds_write_b128 v151, v[122:125] offset:176
	ds_write_b128 v151, v[154:157] offset:352
	;; [unrolled: 1-line block ×10, first 2 shown]
	s_waitcnt lgkmcnt(0)
	s_barrier
	global_load_dwordx4 v[84:87], v152, s[8:9] offset:1936
	s_add_u32 s8, s8, 0x790
	s_addc_u32 s9, s9, 0
	global_load_dwordx4 v[88:91], v152, s[8:9] offset:176
	global_load_dwordx4 v[92:95], v152, s[8:9] offset:352
	;; [unrolled: 1-line block ×10, first 2 shown]
	ds_read_b128 v[130:133], v151
	ds_read_b128 v[134:137], v151 offset:176
	s_mov_b32 s9, 0x3fe82f19
	s_mov_b32 s8, s22
	s_waitcnt vmcnt(10) lgkmcnt(1)
	v_mul_f64 v[138:139], v[132:133], v[86:87]
	v_mul_f64 v[140:141], v[130:131], v[86:87]
	v_fma_f64 v[138:139], v[130:131], v[84:85], -v[138:139]
	v_fmac_f64_e32 v[140:141], v[132:133], v[84:85]
	s_waitcnt vmcnt(9) lgkmcnt(0)
	v_mul_f64 v[130:131], v[136:137], v[90:91]
	ds_read_b128 v[84:87], v151 offset:352
	v_mul_f64 v[132:133], v[134:135], v[90:91]
	v_fma_f64 v[130:131], v[134:135], v[88:89], -v[130:131]
	v_fmac_f64_e32 v[132:133], v[136:137], v[88:89]
	ds_read_b128 v[88:91], v151 offset:528
	s_waitcnt vmcnt(8) lgkmcnt(1)
	v_mul_f64 v[134:135], v[86:87], v[94:95]
	v_mul_f64 v[136:137], v[84:85], v[94:95]
	v_fma_f64 v[134:135], v[84:85], v[92:93], -v[134:135]
	v_fmac_f64_e32 v[136:137], v[86:87], v[92:93]
	s_waitcnt vmcnt(7) lgkmcnt(0)
	v_mul_f64 v[92:93], v[90:91], v[98:99]
	ds_read_b128 v[84:87], v151 offset:704
	v_mul_f64 v[94:95], v[88:89], v[98:99]
	v_fma_f64 v[92:93], v[88:89], v[96:97], -v[92:93]
	v_fmac_f64_e32 v[94:95], v[90:91], v[96:97]
	ds_read_b128 v[88:91], v151 offset:880
	s_waitcnt vmcnt(6) lgkmcnt(1)
	v_mul_f64 v[96:97], v[86:87], v[102:103]
	v_mul_f64 v[98:99], v[84:85], v[102:103]
	v_fma_f64 v[96:97], v[84:85], v[100:101], -v[96:97]
	v_fmac_f64_e32 v[98:99], v[86:87], v[100:101]
	s_waitcnt vmcnt(5) lgkmcnt(0)
	v_mul_f64 v[84:85], v[90:91], v[108:109]
	v_mul_f64 v[86:87], v[88:89], v[108:109]
	ds_write_b128 v151, v[138:141]
	ds_write_b128 v151, v[130:133] offset:176
	ds_write_b128 v151, v[134:137] offset:352
	v_fma_f64 v[84:85], v[88:89], v[106:107], -v[84:85]
	v_fmac_f64_e32 v[86:87], v[90:91], v[106:107]
	ds_read_b128 v[88:91], v151 offset:1056
	ds_write_b128 v151, v[92:95] offset:528
	ds_write_b128 v151, v[96:99] offset:704
	;; [unrolled: 1-line block ×3, first 2 shown]
	ds_read_b128 v[84:87], v151 offset:1232
	s_waitcnt vmcnt(4) lgkmcnt(4)
	v_mul_f64 v[92:93], v[90:91], v[112:113]
	v_mul_f64 v[94:95], v[88:89], v[112:113]
	v_fma_f64 v[92:93], v[88:89], v[110:111], -v[92:93]
	v_fmac_f64_e32 v[94:95], v[90:91], v[110:111]
	ds_write_b128 v151, v[92:95] offset:1056
	ds_read_b128 v[92:95], v151 offset:1408
	s_waitcnt vmcnt(3) lgkmcnt(2)
	v_mul_f64 v[88:89], v[86:87], v[116:117]
	v_mul_f64 v[90:91], v[84:85], v[116:117]
	v_fma_f64 v[88:89], v[84:85], v[114:115], -v[88:89]
	v_fmac_f64_e32 v[90:91], v[86:87], v[114:115]
	ds_write_b128 v151, v[88:91] offset:1232
	s_waitcnt vmcnt(2) lgkmcnt(1)
	v_mul_f64 v[88:89], v[94:95], v[120:121]
	v_mul_f64 v[90:91], v[92:93], v[120:121]
	ds_read_b128 v[84:87], v151 offset:1584
	v_fma_f64 v[88:89], v[92:93], v[118:119], -v[88:89]
	v_fmac_f64_e32 v[90:91], v[94:95], v[118:119]
	ds_write_b128 v151, v[88:91] offset:1408
	ds_read_b128 v[88:91], v151 offset:1760
	s_waitcnt vmcnt(1) lgkmcnt(2)
	v_mul_f64 v[92:93], v[86:87], v[124:125]
	v_mul_f64 v[94:95], v[84:85], v[124:125]
	v_fma_f64 v[92:93], v[84:85], v[122:123], -v[92:93]
	v_fmac_f64_e32 v[94:95], v[86:87], v[122:123]
	s_waitcnt vmcnt(0) lgkmcnt(0)
	v_mul_f64 v[84:85], v[90:91], v[128:129]
	v_mul_f64 v[86:87], v[88:89], v[128:129]
	v_fma_f64 v[84:85], v[88:89], v[126:127], -v[84:85]
	v_fmac_f64_e32 v[86:87], v[90:91], v[126:127]
	ds_write_b128 v151, v[92:95] offset:1584
	ds_write_b128 v151, v[84:87] offset:1760
	s_waitcnt lgkmcnt(0)
	s_barrier
	ds_read_b128 v[88:91], v151
	ds_read_b128 v[106:109], v151 offset:176
	ds_read_b128 v[112:115], v151 offset:352
	;; [unrolled: 1-line block ×5, first 2 shown]
	s_waitcnt lgkmcnt(4)
	v_add_f64 v[84:85], v[88:89], v[106:107]
	ds_read_b128 v[100:103], v151 offset:1056
	ds_read_b128 v[126:129], v151 offset:1232
	v_add_f64 v[86:87], v[90:91], v[108:109]
	s_waitcnt lgkmcnt(5)
	v_add_f64 v[84:85], v[84:85], v[112:113]
	v_add_f64 v[86:87], v[86:87], v[114:115]
	s_waitcnt lgkmcnt(4)
	v_add_f64 v[84:85], v[84:85], v[120:121]
	ds_read_b128 v[136:139], v151 offset:1408
	ds_read_b128 v[116:119], v151 offset:1584
	v_add_f64 v[86:87], v[86:87], v[122:123]
	s_waitcnt lgkmcnt(5)
	v_add_f64 v[84:85], v[84:85], v[96:97]
	v_add_f64 v[86:87], v[86:87], v[98:99]
	s_waitcnt lgkmcnt(4)
	v_add_f64 v[84:85], v[84:85], v[92:93]
	ds_read_b128 v[140:143], v151 offset:1760
	v_add_f64 v[86:87], v[86:87], v[94:95]
	s_waitcnt lgkmcnt(4)
	v_add_f64 v[84:85], v[84:85], v[100:101]
	v_add_f64 v[86:87], v[86:87], v[102:103]
	s_waitcnt lgkmcnt(3)
	v_add_f64 v[84:85], v[84:85], v[126:127]
	;; [unrolled: 3-line block ×5, first 2 shown]
	v_add_f64 v[134:135], v[106:107], v[140:141]
	v_add_f64 v[130:131], v[106:107], -v[140:141]
	v_add_f64 v[140:141], v[108:109], -v[142:143]
	v_add_f64 v[86:87], v[86:87], v[142:143]
	v_add_f64 v[132:133], v[108:109], v[142:143]
	;; [unrolled: 1-line block ×4, first 2 shown]
	v_add_f64 v[108:109], v[112:113], -v[116:117]
	v_add_f64 v[112:113], v[114:115], -v[118:119]
	v_add_f64 v[114:115], v[120:121], v[136:137]
	v_add_f64 v[118:119], v[122:123], v[138:139]
	v_add_f64 v[116:117], v[120:121], -v[136:137]
	v_add_f64 v[120:121], v[122:123], -v[138:139]
	v_add_f64 v[122:123], v[96:97], v[126:127]
	v_add_f64 v[96:97], v[96:97], -v[126:127]
	v_add_f64 v[126:127], v[92:93], v[100:101]
	v_add_f64 v[92:93], v[92:93], -v[100:101]
	v_mul_f64 v[100:101], v[140:141], s[18:19]
	v_mul_f64 v[136:137], v[140:141], s[12:13]
	;; [unrolled: 1-line block ×5, first 2 shown]
	v_add_f64 v[124:125], v[98:99], v[128:129]
	v_add_f64 v[98:99], v[98:99], -v[128:129]
	v_add_f64 v[128:129], v[94:95], v[102:103]
	v_add_f64 v[94:95], v[94:95], -v[102:103]
	v_fma_f64 v[102:103], s[20:21], v[134:135], v[100:101]
	v_fma_f64 v[100:101], v[134:135], s[20:21], -v[100:101]
	v_fma_f64 v[138:139], s[14:15], v[134:135], v[136:137]
	v_fma_f64 v[136:137], v[134:135], s[14:15], -v[136:137]
	v_fma_f64 v[144:145], s[16:17], v[134:135], v[142:143]
	v_fma_f64 v[142:143], v[134:135], s[16:17], -v[142:143]
	v_fma_f64 v[148:149], s[24:25], v[134:135], v[146:147]
	v_fma_f64 v[146:147], v[134:135], s[24:25], -v[146:147]
	v_fma_f64 v[154:155], s[30:31], v[134:135], v[140:141]
	v_fma_f64 v[134:135], v[134:135], s[30:31], -v[140:141]
	v_mul_f64 v[140:141], v[132:133], s[20:21]
	v_mul_f64 v[158:159], v[132:133], s[14:15]
	;; [unrolled: 1-line block ×5, first 2 shown]
	v_fma_f64 v[170:171], s[38:39], v[130:131], v[132:133]
	v_fmac_f64_e32 v[132:133], s[26:27], v[130:131]
	v_fma_f64 v[156:157], s[36:37], v[130:131], v[140:141]
	v_add_f64 v[178:179], v[90:91], v[132:133]
	v_mul_f64 v[132:133], v[110:111], s[14:15]
	v_fmac_f64_e32 v[140:141], s[18:19], v[130:131]
	v_fma_f64 v[160:161], s[34:35], v[130:131], v[158:159]
	v_fmac_f64_e32 v[158:159], s[12:13], v[130:131]
	v_fma_f64 v[164:165], s[28:29], v[130:131], v[162:163]
	;; [unrolled: 2-line block ×3, first 2 shown]
	v_fmac_f64_e32 v[166:167], s[22:23], v[130:131]
	v_add_f64 v[102:103], v[88:89], v[102:103]
	v_add_f64 v[130:131], v[90:91], v[156:157]
	;; [unrolled: 1-line block ×11, first 2 shown]
	v_mul_f64 v[88:89], v[112:113], s[12:13]
	v_fma_f64 v[100:101], s[34:35], v[108:109], v[132:133]
	v_add_f64 v[140:141], v[90:91], v[140:141]
	v_add_f64 v[160:161], v[90:91], v[160:161]
	;; [unrolled: 1-line block ×8, first 2 shown]
	v_fma_f64 v[90:91], s[14:15], v[106:107], v[88:89]
	v_add_f64 v[100:101], v[100:101], v[130:131]
	v_mul_f64 v[130:131], v[120:121], s[2:3]
	v_add_f64 v[90:91], v[90:91], v[102:103]
	v_fma_f64 v[102:103], s[16:17], v[114:115], v[130:131]
	v_mul_f64 v[134:135], v[118:119], s[16:17]
	v_add_f64 v[90:91], v[102:103], v[90:91]
	v_fma_f64 v[102:103], s[28:29], v[116:117], v[134:135]
	;; [unrolled: 3-line block ×4, first 2 shown]
	v_mul_f64 v[180:181], v[94:95], s[26:27]
	v_fma_f64 v[88:89], v[106:107], s[14:15], -v[88:89]
	v_fmac_f64_e32 v[132:133], s[12:13], v[108:109]
	v_add_f64 v[102:103], v[102:103], v[100:101]
	v_fma_f64 v[100:101], s[30:31], v[126:127], v[180:181]
	v_add_f64 v[88:89], v[88:89], v[156:157]
	v_add_f64 v[132:133], v[132:133], v[140:141]
	v_fma_f64 v[130:131], v[114:115], s[16:17], -v[130:131]
	v_fmac_f64_e32 v[134:135], s[2:3], v[116:117]
	v_add_f64 v[100:101], v[100:101], v[90:91]
	v_mul_f64 v[90:91], v[128:129], s[30:31]
	v_add_f64 v[88:89], v[130:131], v[88:89]
	v_add_f64 v[130:131], v[134:135], v[132:133]
	v_fmac_f64_e32 v[154:155], s[22:23], v[96:97]
	v_fma_f64 v[182:183], s[38:39], v[92:93], v[90:91]
	v_add_f64 v[130:131], v[154:155], v[130:131]
	v_fmac_f64_e32 v[90:91], s[26:27], v[92:93]
	v_mul_f64 v[134:135], v[112:113], s[22:23]
	v_fma_f64 v[132:133], v[122:123], s[24:25], -v[146:147]
	v_add_f64 v[90:91], v[90:91], v[130:131]
	v_fma_f64 v[130:131], s[24:25], v[106:107], v[134:135]
	v_mul_f64 v[140:141], v[120:121], s[38:39]
	v_add_f64 v[88:89], v[132:133], v[88:89]
	v_fma_f64 v[132:133], v[126:127], s[30:31], -v[180:181]
	v_add_f64 v[130:131], v[130:131], v[138:139]
	v_mul_f64 v[138:139], v[110:111], s[24:25]
	v_fma_f64 v[146:147], s[30:31], v[114:115], v[140:141]
	v_add_f64 v[88:89], v[132:133], v[88:89]
	v_fma_f64 v[132:133], s[8:9], v[108:109], v[138:139]
	v_add_f64 v[130:131], v[146:147], v[130:131]
	v_mul_f64 v[146:147], v[118:119], s[30:31]
	v_add_f64 v[132:133], v[132:133], v[160:161]
	v_fma_f64 v[154:155], s[26:27], v[116:117], v[146:147]
	v_add_f64 v[132:133], v[154:155], v[132:133]
	v_mul_f64 v[154:155], v[98:99], s[28:29]
	v_fma_f64 v[156:157], s[16:17], v[122:123], v[154:155]
	v_add_f64 v[130:131], v[156:157], v[130:131]
	v_mul_f64 v[156:157], v[124:125], s[16:17]
	v_fma_f64 v[134:135], v[106:107], s[24:25], -v[134:135]
	v_fmac_f64_e32 v[138:139], s[22:23], v[108:109]
	v_fma_f64 v[160:161], s[2:3], v[96:97], v[156:157]
	v_add_f64 v[134:135], v[134:135], v[136:137]
	v_add_f64 v[136:137], v[138:139], v[158:159]
	v_fma_f64 v[138:139], v[114:115], s[30:31], -v[140:141]
	v_add_f64 v[132:133], v[160:161], v[132:133]
	v_mul_f64 v[160:161], v[94:95], s[36:37]
	v_add_f64 v[134:135], v[138:139], v[134:135]
	v_fmac_f64_e32 v[146:147], s[38:39], v[116:117]
	v_fma_f64 v[138:139], v[122:123], s[16:17], -v[154:155]
	v_add_f64 v[136:137], v[146:147], v[136:137]
	v_add_f64 v[134:135], v[138:139], v[134:135]
	v_fma_f64 v[138:139], v[126:127], s[20:21], -v[160:161]
	v_mul_f64 v[146:147], v[112:113], s[38:39]
	v_fmac_f64_e32 v[156:157], s[28:29], v[96:97]
	v_add_f64 v[134:135], v[138:139], v[134:135]
	v_fma_f64 v[138:139], s[30:31], v[106:107], v[146:147]
	v_mul_f64 v[154:155], v[120:121], s[34:35]
	v_add_f64 v[136:137], v[156:157], v[136:137]
	v_add_f64 v[138:139], v[138:139], v[144:145]
	v_mul_f64 v[144:145], v[110:111], s[30:31]
	v_fma_f64 v[156:157], s[14:15], v[114:115], v[154:155]
	v_fma_f64 v[140:141], s[26:27], v[108:109], v[144:145]
	v_add_f64 v[138:139], v[156:157], v[138:139]
	v_mul_f64 v[156:157], v[118:119], s[14:15]
	v_add_f64 v[140:141], v[140:141], v[164:165]
	v_fma_f64 v[158:159], s[12:13], v[116:117], v[156:157]
	v_add_f64 v[140:141], v[158:159], v[140:141]
	v_mul_f64 v[158:159], v[98:99], s[18:19]
	v_fma_f64 v[180:181], s[20:21], v[126:127], v[160:161]
	v_fma_f64 v[160:161], s[20:21], v[122:123], v[158:159]
	v_add_f64 v[138:139], v[160:161], v[138:139]
	v_mul_f64 v[160:161], v[124:125], s[20:21]
	v_fma_f64 v[146:147], v[106:107], s[30:31], -v[146:147]
	v_fma_f64 v[164:165], s[36:37], v[96:97], v[160:161]
	v_add_f64 v[142:143], v[146:147], v[142:143]
	v_fma_f64 v[146:147], v[114:115], s[14:15], -v[154:155]
	v_add_f64 v[140:141], v[164:165], v[140:141]
	v_mul_f64 v[164:165], v[94:95], s[22:23]
	v_fmac_f64_e32 v[144:145], s[38:39], v[108:109]
	v_add_f64 v[142:143], v[146:147], v[142:143]
	v_fma_f64 v[146:147], v[122:123], s[20:21], -v[158:159]
	v_add_f64 v[144:145], v[144:145], v[162:163]
	v_fmac_f64_e32 v[156:157], s[34:35], v[116:117]
	v_add_f64 v[142:143], v[146:147], v[142:143]
	v_fma_f64 v[146:147], v[126:127], s[24:25], -v[164:165]
	v_mul_f64 v[154:155], v[112:113], s[28:29]
	v_add_f64 v[144:145], v[156:157], v[144:145]
	v_fmac_f64_e32 v[160:161], s[18:19], v[96:97]
	v_add_f64 v[142:143], v[146:147], v[142:143]
	v_fma_f64 v[146:147], s[16:17], v[106:107], v[154:155]
	v_mul_f64 v[158:159], v[120:121], s[18:19]
	v_add_f64 v[144:145], v[160:161], v[144:145]
	v_add_f64 v[146:147], v[146:147], v[148:149]
	v_mul_f64 v[156:157], v[110:111], s[16:17]
	v_fma_f64 v[160:161], s[20:21], v[114:115], v[158:159]
	v_fma_f64 v[148:149], s[2:3], v[108:109], v[156:157]
	v_add_f64 v[146:147], v[160:161], v[146:147]
	v_mul_f64 v[160:161], v[118:119], s[20:21]
	v_add_f64 v[130:131], v[180:181], v[130:131]
	v_mul_f64 v[180:181], v[128:129], s[20:21]
	v_add_f64 v[148:149], v[148:149], v[168:169]
	v_fma_f64 v[162:163], s[36:37], v[116:117], v[160:161]
	v_add_f64 v[102:103], v[182:183], v[102:103]
	v_fma_f64 v[182:183], s[18:19], v[92:93], v[180:181]
	v_fmac_f64_e32 v[180:181], s[36:37], v[92:93]
	v_add_f64 v[148:149], v[162:163], v[148:149]
	v_mul_f64 v[162:163], v[98:99], s[26:27]
	v_add_f64 v[136:137], v[180:181], v[136:137]
	v_fma_f64 v[180:181], s[24:25], v[126:127], v[164:165]
	v_fma_f64 v[164:165], s[30:31], v[122:123], v[162:163]
	v_add_f64 v[146:147], v[164:165], v[146:147]
	v_mul_f64 v[164:165], v[124:125], s[30:31]
	v_fma_f64 v[154:155], v[106:107], s[16:17], -v[154:155]
	v_fma_f64 v[168:169], s[38:39], v[96:97], v[164:165]
	v_add_f64 v[154:155], v[154:155], v[172:173]
	v_fma_f64 v[158:159], v[114:115], s[20:21], -v[158:159]
	v_add_f64 v[148:149], v[168:169], v[148:149]
	v_mul_f64 v[168:169], v[94:95], s[34:35]
	v_add_f64 v[154:155], v[158:159], v[154:155]
	v_fma_f64 v[158:159], v[122:123], s[30:31], -v[162:163]
	v_fmac_f64_e32 v[156:157], s[28:29], v[108:109]
	v_add_f64 v[154:155], v[158:159], v[154:155]
	v_fma_f64 v[158:159], v[126:127], s[14:15], -v[168:169]
	v_add_f64 v[156:157], v[156:157], v[166:167]
	v_fmac_f64_e32 v[160:161], s[18:19], v[116:117]
	v_add_f64 v[154:155], v[158:159], v[154:155]
	v_mul_f64 v[158:159], v[112:113], s[36:37]
	v_add_f64 v[156:157], v[160:161], v[156:157]
	v_fma_f64 v[112:113], s[20:21], v[106:107], v[158:159]
	v_mul_f64 v[160:161], v[110:111], s[20:21]
	v_mul_f64 v[120:121], v[120:121], s[22:23]
	v_add_f64 v[112:113], v[112:113], v[174:175]
	v_fma_f64 v[110:111], s[18:19], v[108:109], v[160:161]
	v_fma_f64 v[162:163], s[24:25], v[114:115], v[120:121]
	v_mul_f64 v[118:119], v[118:119], s[24:25]
	v_add_f64 v[138:139], v[180:181], v[138:139]
	v_mul_f64 v[180:181], v[128:129], s[24:25]
	v_add_f64 v[110:111], v[110:111], v[170:171]
	v_add_f64 v[112:113], v[162:163], v[112:113]
	v_fma_f64 v[162:163], s[8:9], v[116:117], v[118:119]
	v_mul_f64 v[98:99], v[98:99], s[34:35]
	v_add_f64 v[132:133], v[182:183], v[132:133]
	v_fma_f64 v[182:183], s[8:9], v[92:93], v[180:181]
	v_fmac_f64_e32 v[180:181], s[22:23], v[92:93]
	v_add_f64 v[110:111], v[162:163], v[110:111]
	v_fma_f64 v[162:163], s[14:15], v[122:123], v[98:99]
	v_mul_f64 v[124:125], v[124:125], s[14:15]
	v_fma_f64 v[106:107], v[106:107], s[20:21], -v[158:159]
	v_fmac_f64_e32 v[160:161], s[36:37], v[108:109]
	v_add_f64 v[144:145], v[180:181], v[144:145]
	v_fma_f64 v[180:181], s[14:15], v[126:127], v[168:169]
	v_add_f64 v[112:113], v[162:163], v[112:113]
	v_fma_f64 v[162:163], s[12:13], v[96:97], v[124:125]
	v_mul_f64 v[94:95], v[94:95], s[2:3]
	v_add_f64 v[106:107], v[106:107], v[176:177]
	v_add_f64 v[108:109], v[160:161], v[178:179]
	v_fma_f64 v[114:115], v[114:115], s[24:25], -v[120:121]
	v_fmac_f64_e32 v[118:119], s[22:23], v[116:117]
	v_add_f64 v[146:147], v[180:181], v[146:147]
	v_mul_f64 v[180:181], v[128:129], s[14:15]
	v_add_f64 v[162:163], v[162:163], v[110:111]
	v_fma_f64 v[110:111], s[16:17], v[126:127], v[94:95]
	v_mul_f64 v[128:129], v[128:129], s[16:17]
	v_add_f64 v[106:107], v[114:115], v[106:107]
	v_add_f64 v[108:109], v[118:119], v[108:109]
	v_fma_f64 v[98:99], v[122:123], s[14:15], -v[98:99]
	v_fmac_f64_e32 v[124:125], s[34:35], v[96:97]
	v_fmac_f64_e32 v[164:165], s[26:27], v[96:97]
	v_add_f64 v[110:111], v[110:111], v[112:113]
	v_fma_f64 v[112:113], s[28:29], v[92:93], v[128:129]
	v_add_f64 v[98:99], v[98:99], v[106:107]
	v_add_f64 v[96:97], v[124:125], v[108:109]
	v_fma_f64 v[94:95], v[126:127], s[16:17], -v[94:95]
	v_fmac_f64_e32 v[128:129], s[2:3], v[92:93]
	v_add_f64 v[140:141], v[182:183], v[140:141]
	v_fma_f64 v[182:183], s[12:13], v[92:93], v[180:181]
	v_add_f64 v[156:157], v[164:165], v[156:157]
	v_fmac_f64_e32 v[180:181], s[34:35], v[92:93]
	v_add_f64 v[92:93], v[94:95], v[98:99]
	v_add_f64 v[94:95], v[128:129], v[96:97]
	;; [unrolled: 1-line block ×5, first 2 shown]
	s_barrier
	ds_write_b128 v153, v[84:87]
	ds_write_b128 v153, v[100:103] offset:16
	ds_write_b128 v153, v[130:133] offset:32
	;; [unrolled: 1-line block ×10, first 2 shown]
	s_waitcnt lgkmcnt(0)
	s_barrier
	ds_read_b128 v[84:87], v151
	ds_read_b128 v[88:91], v151 offset:176
	ds_read_b128 v[92:95], v151 offset:352
	;; [unrolled: 1-line block ×5, first 2 shown]
	s_waitcnt lgkmcnt(4)
	v_mul_f64 v[114:115], v[58:59], v[90:91]
	v_fmac_f64_e32 v[114:115], v[56:57], v[88:89]
	v_mul_f64 v[58:59], v[58:59], v[88:89]
	s_waitcnt lgkmcnt(3)
	v_mul_f64 v[118:119], v[54:55], v[94:95]
	v_mul_f64 v[54:55], v[54:55], v[92:93]
	s_waitcnt lgkmcnt(2)
	v_mul_f64 v[122:123], v[50:51], v[98:99]
	;; [unrolled: 3-line block ×3, first 2 shown]
	v_mul_f64 v[46:47], v[46:47], v[100:101]
	v_fma_f64 v[116:117], v[56:57], v[90:91], -v[58:59]
	ds_read_b128 v[56:59], v151 offset:1056
	ds_read_b128 v[110:113], v151 offset:1232
	v_fmac_f64_e32 v[118:119], v[52:53], v[92:93]
	v_fma_f64 v[120:121], v[52:53], v[94:95], -v[54:55]
	v_fmac_f64_e32 v[122:123], v[48:49], v[96:97]
	v_fma_f64 v[124:125], v[48:49], v[98:99], -v[50:51]
	ds_read_b128 v[92:95], v151 offset:1408
	ds_read_b128 v[96:99], v151 offset:1584
	v_fmac_f64_e32 v[88:89], v[44:45], v[100:101]
	v_fma_f64 v[90:91], v[44:45], v[102:103], -v[46:47]
	ds_read_b128 v[44:47], v151 offset:1760
	s_waitcnt lgkmcnt(4)
	v_mul_f64 v[52:53], v[70:71], v[58:59]
	v_mul_f64 v[54:55], v[70:71], v[56:57]
	v_fmac_f64_e32 v[52:53], v[68:69], v[56:57]
	v_fma_f64 v[54:55], v[68:69], v[58:59], -v[54:55]
	s_waitcnt lgkmcnt(3)
	v_mul_f64 v[68:69], v[66:67], v[112:113]
	v_mul_f64 v[56:57], v[66:67], v[110:111]
	s_waitcnt lgkmcnt(0)
	v_mul_f64 v[66:67], v[82:83], v[46:47]
	v_fmac_f64_e32 v[66:67], v[80:81], v[44:45]
	v_mul_f64 v[44:45], v[82:83], v[44:45]
	v_fma_f64 v[70:71], v[80:81], v[46:47], -v[44:45]
	v_add_f64 v[46:47], v[86:87], v[116:117]
	v_add_f64 v[46:47], v[46:47], v[120:121]
	v_mul_f64 v[50:51], v[74:75], v[106:107]
	v_add_f64 v[44:45], v[84:85], v[114:115]
	v_add_f64 v[46:47], v[46:47], v[124:125]
	v_fma_f64 v[50:51], v[72:73], v[108:109], -v[50:51]
	v_add_f64 v[44:45], v[44:45], v[118:119]
	v_add_f64 v[46:47], v[46:47], v[90:91]
	v_mul_f64 v[48:49], v[74:75], v[108:109]
	v_add_f64 v[44:45], v[44:45], v[122:123]
	v_add_f64 v[46:47], v[46:47], v[50:51]
	v_fmac_f64_e32 v[48:49], v[72:73], v[106:107]
	v_fmac_f64_e32 v[68:69], v[64:65], v[110:111]
	v_fma_f64 v[64:65], v[64:65], v[112:113], -v[56:57]
	v_mul_f64 v[58:59], v[62:63], v[92:93]
	v_add_f64 v[44:45], v[44:45], v[88:89]
	v_add_f64 v[46:47], v[46:47], v[54:55]
	v_mul_f64 v[56:57], v[62:63], v[94:95]
	v_fma_f64 v[58:59], v[60:61], v[94:95], -v[58:59]
	v_mul_f64 v[62:63], v[78:79], v[96:97]
	v_add_f64 v[44:45], v[44:45], v[48:49]
	v_add_f64 v[46:47], v[46:47], v[64:65]
	v_fma_f64 v[62:63], v[76:77], v[98:99], -v[62:63]
	v_add_f64 v[44:45], v[44:45], v[52:53]
	v_add_f64 v[46:47], v[46:47], v[58:59]
	v_fmac_f64_e32 v[56:57], v[60:61], v[92:93]
	v_mul_f64 v[60:61], v[78:79], v[98:99]
	v_add_f64 v[44:45], v[44:45], v[68:69]
	v_add_f64 v[46:47], v[46:47], v[62:63]
	v_fmac_f64_e32 v[60:61], v[76:77], v[96:97]
	v_add_f64 v[44:45], v[44:45], v[56:57]
	v_add_f64 v[46:47], v[46:47], v[70:71]
	;; [unrolled: 1-line block ×3, first 2 shown]
	v_add_f64 v[70:71], v[116:117], -v[70:71]
	v_add_f64 v[44:45], v[44:45], v[60:61]
	v_add_f64 v[72:73], v[114:115], v[66:67]
	v_mul_f64 v[76:77], v[70:71], s[18:19]
	v_mul_f64 v[92:93], v[70:71], s[12:13]
	;; [unrolled: 1-line block ×5, first 2 shown]
	v_add_f64 v[44:45], v[44:45], v[66:67]
	v_add_f64 v[66:67], v[114:115], -v[66:67]
	v_fma_f64 v[78:79], s[20:21], v[72:73], v[76:77]
	v_mul_f64 v[80:81], v[74:75], s[20:21]
	v_fma_f64 v[76:77], v[72:73], s[20:21], -v[76:77]
	v_fma_f64 v[94:95], s[14:15], v[72:73], v[92:93]
	v_mul_f64 v[96:97], v[74:75], s[14:15]
	v_fma_f64 v[92:93], v[72:73], s[14:15], -v[92:93]
	v_fma_f64 v[102:103], s[16:17], v[72:73], v[100:101]
	v_fma_f64 v[100:101], v[72:73], s[16:17], -v[100:101]
	v_fma_f64 v[108:109], s[24:25], v[72:73], v[106:107]
	;; [unrolled: 2-line block ×3, first 2 shown]
	v_fma_f64 v[70:71], v[72:73], s[30:31], -v[70:71]
	v_mul_f64 v[72:73], v[74:75], s[16:17]
	v_mul_f64 v[114:115], v[74:75], s[24:25]
	;; [unrolled: 1-line block ×3, first 2 shown]
	v_fma_f64 v[82:83], s[36:37], v[66:67], v[80:81]
	v_fmac_f64_e32 v[80:81], s[18:19], v[66:67]
	v_fma_f64 v[98:99], s[34:35], v[66:67], v[96:97]
	v_fmac_f64_e32 v[96:97], s[12:13], v[66:67]
	;; [unrolled: 2-line block ×5, first 2 shown]
	v_add_f64 v[66:67], v[84:85], v[78:79]
	v_add_f64 v[78:79], v[86:87], v[82:83]
	;; [unrolled: 1-line block ×14, first 2 shown]
	v_add_f64 v[62:63], v[120:121], -v[62:63]
	v_add_f64 v[76:77], v[84:85], v[76:77]
	v_add_f64 v[92:93], v[84:85], v[92:93]
	;; [unrolled: 1-line block ×8, first 2 shown]
	v_add_f64 v[60:61], v[118:119], -v[60:61]
	v_mul_f64 v[118:119], v[62:63], s[12:13]
	v_fma_f64 v[120:121], s[14:15], v[84:85], v[118:119]
	v_add_f64 v[66:67], v[120:121], v[66:67]
	v_mul_f64 v[120:121], v[86:87], s[14:15]
	v_fma_f64 v[118:119], v[84:85], s[14:15], -v[118:119]
	v_fma_f64 v[126:127], s[34:35], v[60:61], v[120:121]
	v_add_f64 v[76:77], v[118:119], v[76:77]
	v_fmac_f64_e32 v[120:121], s[12:13], v[60:61]
	v_mul_f64 v[118:119], v[62:63], s[22:23]
	v_add_f64 v[80:81], v[120:121], v[80:81]
	v_fma_f64 v[120:121], s[24:25], v[84:85], v[118:119]
	v_add_f64 v[82:83], v[120:121], v[82:83]
	v_mul_f64 v[120:121], v[86:87], s[24:25]
	v_fma_f64 v[118:119], v[84:85], s[24:25], -v[118:119]
	v_add_f64 v[78:79], v[126:127], v[78:79]
	v_fma_f64 v[126:127], s[8:9], v[60:61], v[120:121]
	v_add_f64 v[92:93], v[118:119], v[92:93]
	v_fmac_f64_e32 v[120:121], s[22:23], v[60:61]
	v_mul_f64 v[118:119], v[62:63], s[38:39]
	v_add_f64 v[96:97], v[120:121], v[96:97]
	v_fma_f64 v[120:121], s[30:31], v[84:85], v[118:119]
	v_add_f64 v[98:99], v[120:121], v[98:99]
	v_mul_f64 v[120:121], v[86:87], s[30:31]
	v_fma_f64 v[118:119], v[84:85], s[30:31], -v[118:119]
	v_add_f64 v[94:95], v[126:127], v[94:95]
	v_fma_f64 v[126:127], s[26:27], v[60:61], v[120:121]
	v_add_f64 v[100:101], v[118:119], v[100:101]
	v_fmac_f64_e32 v[120:121], s[38:39], v[60:61]
	v_mul_f64 v[118:119], v[62:63], s[28:29]
	v_add_f64 v[72:73], v[120:121], v[72:73]
	v_fma_f64 v[120:121], s[16:17], v[84:85], v[118:119]
	v_fma_f64 v[118:119], v[84:85], s[16:17], -v[118:119]
	v_mul_f64 v[62:63], v[62:63], s[36:37]
	v_add_f64 v[108:109], v[120:121], v[108:109]
	v_mul_f64 v[120:121], v[86:87], s[16:17]
	v_add_f64 v[106:107], v[118:119], v[106:107]
	v_fma_f64 v[118:119], s[20:21], v[84:85], v[62:63]
	v_mul_f64 v[86:87], v[86:87], s[20:21]
	v_add_f64 v[110:111], v[118:119], v[110:111]
	v_fma_f64 v[118:119], s[18:19], v[60:61], v[86:87]
	v_fmac_f64_e32 v[86:87], s[36:37], v[60:61]
	v_add_f64 v[102:103], v[126:127], v[102:103]
	v_fma_f64 v[126:127], s[2:3], v[60:61], v[120:121]
	v_fmac_f64_e32 v[120:121], s[28:29], v[60:61]
	v_fma_f64 v[62:63], v[84:85], s[20:21], -v[62:63]
	v_add_f64 v[60:61], v[86:87], v[74:75]
	v_add_f64 v[86:87], v[124:125], -v[58:59]
	v_add_f64 v[62:63], v[62:63], v[70:71]
	v_add_f64 v[70:71], v[122:123], v[56:57]
	v_add_f64 v[84:85], v[122:123], -v[56:57]
	v_mul_f64 v[56:57], v[86:87], s[2:3]
	v_add_f64 v[74:75], v[124:125], v[58:59]
	v_fma_f64 v[58:59], s[16:17], v[70:71], v[56:57]
	v_add_f64 v[66:67], v[58:59], v[66:67]
	v_mul_f64 v[58:59], v[74:75], s[16:17]
	v_fma_f64 v[56:57], v[70:71], s[16:17], -v[56:57]
	v_add_f64 v[116:117], v[118:119], v[116:117]
	v_fma_f64 v[118:119], s[28:29], v[84:85], v[58:59]
	v_add_f64 v[76:77], v[56:57], v[76:77]
	v_fmac_f64_e32 v[58:59], s[2:3], v[84:85]
	v_mul_f64 v[56:57], v[86:87], s[38:39]
	v_add_f64 v[80:81], v[58:59], v[80:81]
	v_fma_f64 v[58:59], s[30:31], v[70:71], v[56:57]
	v_add_f64 v[82:83], v[58:59], v[82:83]
	v_mul_f64 v[58:59], v[74:75], s[30:31]
	v_fma_f64 v[56:57], v[70:71], s[30:31], -v[56:57]
	v_add_f64 v[78:79], v[118:119], v[78:79]
	v_fma_f64 v[118:119], s[26:27], v[84:85], v[58:59]
	v_add_f64 v[92:93], v[56:57], v[92:93]
	v_fmac_f64_e32 v[58:59], s[38:39], v[84:85]
	v_mul_f64 v[56:57], v[86:87], s[34:35]
	v_add_f64 v[96:97], v[58:59], v[96:97]
	v_fma_f64 v[58:59], s[14:15], v[70:71], v[56:57]
	v_add_f64 v[98:99], v[58:59], v[98:99]
	v_mul_f64 v[58:59], v[74:75], s[14:15]
	v_add_f64 v[94:95], v[118:119], v[94:95]
	v_fma_f64 v[118:119], s[12:13], v[84:85], v[58:59]
	v_fmac_f64_e32 v[58:59], s[34:35], v[84:85]
	v_fma_f64 v[56:57], v[70:71], s[14:15], -v[56:57]
	v_add_f64 v[72:73], v[58:59], v[72:73]
	v_mul_f64 v[58:59], v[86:87], s[18:19]
	v_add_f64 v[102:103], v[118:119], v[102:103]
	v_add_f64 v[100:101], v[56:57], v[100:101]
	v_fma_f64 v[56:57], s[20:21], v[70:71], v[58:59]
	v_mul_f64 v[118:119], v[74:75], s[20:21]
	v_add_f64 v[114:115], v[120:121], v[114:115]
	v_add_f64 v[108:109], v[56:57], v[108:109]
	v_fma_f64 v[56:57], s[36:37], v[84:85], v[118:119]
	v_fmac_f64_e32 v[118:119], s[18:19], v[84:85]
	v_mul_f64 v[86:87], v[86:87], s[22:23]
	v_add_f64 v[114:115], v[118:119], v[114:115]
	v_fma_f64 v[118:119], s[24:25], v[70:71], v[86:87]
	v_mul_f64 v[74:75], v[74:75], s[24:25]
	v_add_f64 v[110:111], v[118:119], v[110:111]
	v_fma_f64 v[118:119], s[8:9], v[84:85], v[74:75]
	v_fmac_f64_e32 v[74:75], s[22:23], v[84:85]
	v_fma_f64 v[58:59], v[70:71], s[20:21], -v[58:59]
	v_fma_f64 v[70:71], v[70:71], s[24:25], -v[86:87]
	v_add_f64 v[60:61], v[74:75], v[60:61]
	v_add_f64 v[74:75], v[90:91], v[64:65]
	v_add_f64 v[64:65], v[90:91], -v[64:65]
	v_add_f64 v[62:63], v[70:71], v[62:63]
	v_add_f64 v[70:71], v[88:89], v[68:69]
	v_mul_f64 v[84:85], v[64:65], s[22:23]
	v_fma_f64 v[86:87], s[24:25], v[70:71], v[84:85]
	v_add_f64 v[68:69], v[88:89], -v[68:69]
	v_add_f64 v[66:67], v[86:87], v[66:67]
	v_mul_f64 v[86:87], v[74:75], s[24:25]
	v_fma_f64 v[84:85], v[70:71], s[24:25], -v[84:85]
	v_fma_f64 v[88:89], s[8:9], v[68:69], v[86:87]
	v_add_f64 v[76:77], v[84:85], v[76:77]
	v_fmac_f64_e32 v[86:87], s[22:23], v[68:69]
	v_mul_f64 v[84:85], v[64:65], s[28:29]
	v_add_f64 v[80:81], v[86:87], v[80:81]
	v_fma_f64 v[86:87], s[16:17], v[70:71], v[84:85]
	v_add_f64 v[82:83], v[86:87], v[82:83]
	v_mul_f64 v[86:87], v[74:75], s[16:17]
	v_add_f64 v[78:79], v[88:89], v[78:79]
	v_fma_f64 v[88:89], s[2:3], v[68:69], v[86:87]
	v_add_f64 v[88:89], v[88:89], v[94:95]
	v_fmac_f64_e32 v[86:87], s[28:29], v[68:69]
	v_mul_f64 v[94:95], v[74:75], s[20:21]
	v_fma_f64 v[84:85], v[70:71], s[16:17], -v[84:85]
	v_add_f64 v[86:87], v[86:87], v[96:97]
	v_mul_f64 v[90:91], v[64:65], s[18:19]
	v_fma_f64 v[96:97], s[36:37], v[68:69], v[94:95]
	v_fmac_f64_e32 v[94:95], s[18:19], v[68:69]
	v_add_f64 v[84:85], v[84:85], v[92:93]
	v_fma_f64 v[92:93], s[20:21], v[70:71], v[90:91]
	v_add_f64 v[94:95], v[94:95], v[72:73]
	v_mul_f64 v[72:73], v[64:65], s[26:27]
	v_add_f64 v[106:107], v[58:59], v[106:107]
	v_add_f64 v[92:93], v[92:93], v[98:99]
	v_fma_f64 v[98:99], s[30:31], v[70:71], v[72:73]
	v_fma_f64 v[72:73], v[70:71], s[30:31], -v[72:73]
	v_mul_f64 v[64:65], v[64:65], s[34:35]
	v_add_f64 v[106:107], v[72:73], v[106:107]
	v_fma_f64 v[72:73], s[14:15], v[70:71], v[64:65]
	v_fma_f64 v[90:91], v[70:71], s[20:21], -v[90:91]
	v_add_f64 v[98:99], v[98:99], v[108:109]
	v_add_f64 v[108:109], v[72:73], v[110:111]
	v_mul_f64 v[72:73], v[74:75], s[14:15]
	v_add_f64 v[116:117], v[118:119], v[116:117]
	v_add_f64 v[90:91], v[90:91], v[100:101]
	v_mul_f64 v[100:101], v[74:75], s[30:31]
	v_fma_f64 v[74:75], s[12:13], v[68:69], v[72:73]
	v_add_f64 v[124:125], v[50:51], -v[54:55]
	v_add_f64 v[112:113], v[126:127], v[112:113]
	v_add_f64 v[110:111], v[74:75], v[116:117]
	v_add_f64 v[116:117], v[48:49], v[52:53]
	v_add_f64 v[122:123], v[48:49], -v[52:53]
	v_mul_f64 v[52:53], v[124:125], s[26:27]
	v_add_f64 v[112:113], v[56:57], v[112:113]
	v_add_f64 v[96:97], v[96:97], v[102:103]
	v_fma_f64 v[102:103], s[38:39], v[68:69], v[100:101]
	v_fmac_f64_e32 v[100:101], s[26:27], v[68:69]
	v_fma_f64 v[64:65], v[70:71], s[14:15], -v[64:65]
	v_fmac_f64_e32 v[72:73], s[34:35], v[68:69]
	v_add_f64 v[120:121], v[50:51], v[54:55]
	v_fma_f64 v[48:49], s[30:31], v[116:117], v[52:53]
	v_add_f64 v[102:103], v[102:103], v[112:113]
	v_add_f64 v[100:101], v[100:101], v[114:115]
	;; [unrolled: 1-line block ×5, first 2 shown]
	v_mul_f64 v[54:55], v[120:121], s[30:31]
	v_mul_f64 v[64:65], v[124:125], s[36:37]
	;; [unrolled: 1-line block ×4, first 2 shown]
	v_fma_f64 v[50:51], s[38:39], v[122:123], v[54:55]
	v_fmac_f64_e32 v[54:55], s[26:27], v[122:123]
	v_fma_f64 v[60:61], s[20:21], v[116:117], v[64:65]
	v_fma_f64 v[62:63], s[18:19], v[122:123], v[66:67]
	;; [unrolled: 1-line block ×3, first 2 shown]
	v_fma_f64 v[72:73], v[116:117], s[24:25], -v[72:73]
	v_fma_f64 v[52:53], v[116:117], s[30:31], -v[52:53]
	v_add_f64 v[54:55], v[54:55], v[80:81]
	v_add_f64 v[60:61], v[60:61], v[82:83]
	v_add_f64 v[62:63], v[62:63], v[88:89]
	v_fma_f64 v[64:65], v[116:117], s[20:21], -v[64:65]
	v_fmac_f64_e32 v[66:67], s[36:37], v[122:123]
	v_mul_f64 v[74:75], v[120:121], s[24:25]
	v_add_f64 v[72:73], v[72:73], v[90:91]
	v_mul_f64 v[80:81], v[124:125], s[34:35]
	v_mul_f64 v[82:83], v[120:121], s[14:15]
	;; [unrolled: 1-line block ×4, first 2 shown]
	v_add_f64 v[50:51], v[50:51], v[78:79]
	v_add_f64 v[52:53], v[52:53], v[76:77]
	;; [unrolled: 1-line block ×4, first 2 shown]
	v_fma_f64 v[70:71], s[8:9], v[122:123], v[74:75]
	v_fmac_f64_e32 v[74:75], s[22:23], v[122:123]
	v_fma_f64 v[76:77], s[14:15], v[116:117], v[80:81]
	v_fma_f64 v[78:79], s[12:13], v[122:123], v[82:83]
	v_fma_f64 v[80:81], v[116:117], s[14:15], -v[80:81]
	v_fmac_f64_e32 v[82:83], s[34:35], v[122:123]
	v_fma_f64 v[84:85], s[16:17], v[116:117], v[88:89]
	v_fma_f64 v[86:87], s[28:29], v[122:123], v[90:91]
	v_fma_f64 v[88:89], v[116:117], s[16:17], -v[88:89]
	v_fmac_f64_e32 v[90:91], s[2:3], v[122:123]
	v_add_f64 v[68:69], v[68:69], v[92:93]
	v_add_f64 v[70:71], v[70:71], v[96:97]
	;; [unrolled: 1-line block ×11, first 2 shown]
	ds_write_b128 v151, v[44:47]
	ds_write_b128 v151, v[48:51] offset:176
	ds_write_b128 v151, v[60:63] offset:352
	;; [unrolled: 1-line block ×10, first 2 shown]
	s_waitcnt lgkmcnt(0)
	s_barrier
	ds_read_b128 v[44:47], v151
	v_mov_b32_e32 v56, s0
	v_mov_b32_e32 v57, s1
	v_mad_u64_u32 v[58:59], s[0:1], s6, v104, 0
	v_mov_b32_e32 v118, v59
	v_mad_u64_u32 v[48:49], s[0:1], s7, v104, v[118:119]
	v_mov_b32_e32 v59, v48
	ds_read_b128 v[48:51], v151 offset:176
	s_waitcnt lgkmcnt(1)
	v_mul_f64 v[52:53], v[42:43], v[46:47]
	s_mov_b32 s0, 0x6be69c90
	v_mul_f64 v[42:43], v[42:43], v[44:45]
	v_fmac_f64_e32 v[52:53], v[40:41], v[44:45]
	s_mov_b32 s1, 0x3f80ecf5
	v_fma_f64 v[40:41], v[40:41], v[46:47], -v[42:43]
	v_mul_f64 v[54:55], v[40:41], s[0:1]
	v_mad_u64_u32 v[40:41], s[2:3], s4, v150, 0
	v_mov_b32_e32 v42, v41
	v_mad_u64_u32 v[42:43], s[2:3], s5, v150, v[42:43]
	v_mov_b32_e32 v41, v42
	v_lshl_add_u64 v[42:43], v[58:59], 4, v[56:57]
	v_lshl_add_u64 v[44:45], v[40:41], 4, v[42:43]
	s_waitcnt lgkmcnt(0)
	v_mul_f64 v[40:41], v[34:35], v[50:51]
	v_mul_f64 v[34:35], v[34:35], v[48:49]
	v_fmac_f64_e32 v[40:41], v[32:33], v[48:49]
	v_fma_f64 v[32:33], v[32:33], v[50:51], -v[34:35]
	v_mad_u64_u32 v[48:49], s[2:3], s4, v105, v[44:45]
	v_mul_f64 v[42:43], v[32:33], s[0:1]
	ds_read_b128 v[32:35], v151 offset:352
	s_mul_i32 s2, s5, 0xb0
	v_mul_f64 v[52:53], v[52:53], s[0:1]
	v_mul_f64 v[40:41], v[40:41], s[0:1]
	v_add_u32_e32 v49, s2, v49
	global_store_dwordx4 v[44:45], v[52:55], off
	global_store_dwordx4 v[48:49], v[40:43], off
	ds_read_b128 v[40:43], v151 offset:528
	s_waitcnt lgkmcnt(1)
	v_mul_f64 v[44:45], v[10:11], v[34:35]
	v_mul_f64 v[10:11], v[10:11], v[32:33]
	v_fmac_f64_e32 v[44:45], v[8:9], v[32:33]
	v_fma_f64 v[8:9], v[8:9], v[34:35], -v[10:11]
	v_mad_u64_u32 v[48:49], s[6:7], s4, v105, v[48:49]
	v_mul_f64 v[46:47], v[8:9], s[0:1]
	v_add_u32_e32 v49, s2, v49
	s_waitcnt lgkmcnt(0)
	v_mul_f64 v[8:9], v[38:39], v[42:43]
	v_mul_f64 v[10:11], v[38:39], v[40:41]
	v_fmac_f64_e32 v[8:9], v[36:37], v[40:41]
	v_fma_f64 v[10:11], v[36:37], v[42:43], -v[10:11]
	ds_read_b128 v[32:35], v151 offset:704
	v_mad_u64_u32 v[40:41], s[6:7], s4, v105, v[48:49]
	v_mul_f64 v[44:45], v[44:45], s[0:1]
	v_mul_f64 v[8:9], v[8:9], s[0:1]
	;; [unrolled: 1-line block ×3, first 2 shown]
	v_add_u32_e32 v41, s2, v41
	global_store_dwordx4 v[48:49], v[44:47], off
	global_store_dwordx4 v[40:41], v[8:11], off
	ds_read_b128 v[8:11], v151 offset:880
	s_waitcnt lgkmcnt(1)
	v_mul_f64 v[36:37], v[14:15], v[34:35]
	v_mul_f64 v[14:15], v[14:15], v[32:33]
	v_fmac_f64_e32 v[36:37], v[12:13], v[32:33]
	v_fma_f64 v[12:13], v[12:13], v[34:35], -v[14:15]
	v_mul_f64 v[38:39], v[12:13], s[0:1]
	s_waitcnt lgkmcnt(0)
	v_mul_f64 v[12:13], v[30:31], v[10:11]
	v_mad_u64_u32 v[32:33], s[6:7], s4, v105, v[40:41]
	v_fmac_f64_e32 v[12:13], v[28:29], v[8:9]
	v_mul_f64 v[8:9], v[30:31], v[8:9]
	v_mul_f64 v[36:37], v[36:37], s[0:1]
	v_add_u32_e32 v33, s2, v33
	v_fma_f64 v[8:9], v[28:29], v[10:11], -v[8:9]
	global_store_dwordx4 v[32:33], v[36:39], off
	v_mul_f64 v[14:15], v[8:9], s[0:1]
	ds_read_b128 v[8:11], v151 offset:1056
	v_mad_u64_u32 v[32:33], s[6:7], s4, v105, v[32:33]
	v_mul_f64 v[12:13], v[12:13], s[0:1]
	v_add_u32_e32 v33, s2, v33
	global_store_dwordx4 v[32:33], v[12:15], off
	ds_read_b128 v[12:15], v151 offset:1232
	s_waitcnt lgkmcnt(1)
	v_mul_f64 v[28:29], v[6:7], v[10:11]
	v_mul_f64 v[6:7], v[6:7], v[8:9]
	v_fmac_f64_e32 v[28:29], v[4:5], v[8:9]
	v_fma_f64 v[4:5], v[4:5], v[10:11], -v[6:7]
	v_mad_u64_u32 v[32:33], s[6:7], s4, v105, v[32:33]
	v_mul_f64 v[30:31], v[4:5], s[0:1]
	v_add_u32_e32 v33, s2, v33
	s_waitcnt lgkmcnt(0)
	v_mul_f64 v[4:5], v[22:23], v[14:15]
	v_mul_f64 v[6:7], v[22:23], v[12:13]
	v_fmac_f64_e32 v[4:5], v[20:21], v[12:13]
	v_fma_f64 v[6:7], v[20:21], v[14:15], -v[6:7]
	ds_read_b128 v[8:11], v151 offset:1408
	v_mad_u64_u32 v[20:21], s[6:7], s4, v105, v[32:33]
	v_mul_f64 v[28:29], v[28:29], s[0:1]
	v_mul_f64 v[4:5], v[4:5], s[0:1]
	;; [unrolled: 1-line block ×3, first 2 shown]
	v_add_u32_e32 v21, s2, v21
	global_store_dwordx4 v[32:33], v[28:31], off
	global_store_dwordx4 v[20:21], v[4:7], off
	ds_read_b128 v[4:7], v151 offset:1584
	s_waitcnt lgkmcnt(1)
	v_mul_f64 v[12:13], v[2:3], v[10:11]
	v_mul_f64 v[2:3], v[2:3], v[8:9]
	v_fmac_f64_e32 v[12:13], v[0:1], v[8:9]
	v_fma_f64 v[0:1], v[0:1], v[10:11], -v[2:3]
	v_mul_f64 v[14:15], v[0:1], s[0:1]
	s_waitcnt lgkmcnt(0)
	v_mul_f64 v[0:1], v[18:19], v[6:7]
	v_mul_f64 v[2:3], v[18:19], v[4:5]
	v_fmac_f64_e32 v[0:1], v[16:17], v[4:5]
	v_fma_f64 v[2:3], v[16:17], v[6:7], -v[2:3]
	ds_read_b128 v[4:7], v151 offset:1760
	v_mad_u64_u32 v[8:9], s[6:7], s4, v105, v[20:21]
	v_mul_f64 v[12:13], v[12:13], s[0:1]
	v_add_u32_e32 v9, s2, v9
	global_store_dwordx4 v[8:9], v[12:15], off
	v_mad_u64_u32 v[8:9], s[6:7], s4, v105, v[8:9]
	v_mul_f64 v[0:1], v[0:1], s[0:1]
	v_mul_f64 v[2:3], v[2:3], s[0:1]
	v_add_u32_e32 v9, s2, v9
	global_store_dwordx4 v[8:9], v[0:3], off
	s_waitcnt lgkmcnt(0)
	s_nop 0
	v_mul_f64 v[0:1], v[26:27], v[6:7]
	v_mul_f64 v[2:3], v[26:27], v[4:5]
	v_fmac_f64_e32 v[0:1], v[24:25], v[4:5]
	v_fma_f64 v[2:3], v[24:25], v[6:7], -v[2:3]
	v_mul_f64 v[0:1], v[0:1], s[0:1]
	v_mul_f64 v[2:3], v[2:3], s[0:1]
	v_mad_u64_u32 v[4:5], s[0:1], s4, v105, v[8:9]
	v_add_u32_e32 v5, s2, v5
	global_store_dwordx4 v[4:5], v[0:3], off
.LBB0_2:
	s_endpgm
	.section	.rodata,"a",@progbits
	.p2align	6, 0x0
	.amdhsa_kernel bluestein_single_fwd_len121_dim1_dp_op_CI_CI
		.amdhsa_group_segment_fixed_size 21296
		.amdhsa_private_segment_fixed_size 0
		.amdhsa_kernarg_size 104
		.amdhsa_user_sgpr_count 2
		.amdhsa_user_sgpr_dispatch_ptr 0
		.amdhsa_user_sgpr_queue_ptr 0
		.amdhsa_user_sgpr_kernarg_segment_ptr 1
		.amdhsa_user_sgpr_dispatch_id 0
		.amdhsa_user_sgpr_kernarg_preload_length 0
		.amdhsa_user_sgpr_kernarg_preload_offset 0
		.amdhsa_user_sgpr_private_segment_size 0
		.amdhsa_uses_dynamic_stack 0
		.amdhsa_enable_private_segment 0
		.amdhsa_system_sgpr_workgroup_id_x 1
		.amdhsa_system_sgpr_workgroup_id_y 0
		.amdhsa_system_sgpr_workgroup_id_z 0
		.amdhsa_system_sgpr_workgroup_info 0
		.amdhsa_system_vgpr_workitem_id 0
		.amdhsa_next_free_vgpr 192
		.amdhsa_next_free_sgpr 40
		.amdhsa_accum_offset 192
		.amdhsa_reserve_vcc 1
		.amdhsa_float_round_mode_32 0
		.amdhsa_float_round_mode_16_64 0
		.amdhsa_float_denorm_mode_32 3
		.amdhsa_float_denorm_mode_16_64 3
		.amdhsa_dx10_clamp 1
		.amdhsa_ieee_mode 1
		.amdhsa_fp16_overflow 0
		.amdhsa_tg_split 0
		.amdhsa_exception_fp_ieee_invalid_op 0
		.amdhsa_exception_fp_denorm_src 0
		.amdhsa_exception_fp_ieee_div_zero 0
		.amdhsa_exception_fp_ieee_overflow 0
		.amdhsa_exception_fp_ieee_underflow 0
		.amdhsa_exception_fp_ieee_inexact 0
		.amdhsa_exception_int_div_zero 0
	.end_amdhsa_kernel
	.text
.Lfunc_end0:
	.size	bluestein_single_fwd_len121_dim1_dp_op_CI_CI, .Lfunc_end0-bluestein_single_fwd_len121_dim1_dp_op_CI_CI
                                        ; -- End function
	.section	.AMDGPU.csdata,"",@progbits
; Kernel info:
; codeLenInByte = 13208
; NumSgprs: 46
; NumVgprs: 192
; NumAgprs: 0
; TotalNumVgprs: 192
; ScratchSize: 0
; MemoryBound: 0
; FloatMode: 240
; IeeeMode: 1
; LDSByteSize: 21296 bytes/workgroup (compile time only)
; SGPRBlocks: 5
; VGPRBlocks: 23
; NumSGPRsForWavesPerEU: 46
; NumVGPRsForWavesPerEU: 192
; AccumOffset: 192
; Occupancy: 2
; WaveLimiterHint : 1
; COMPUTE_PGM_RSRC2:SCRATCH_EN: 0
; COMPUTE_PGM_RSRC2:USER_SGPR: 2
; COMPUTE_PGM_RSRC2:TRAP_HANDLER: 0
; COMPUTE_PGM_RSRC2:TGID_X_EN: 1
; COMPUTE_PGM_RSRC2:TGID_Y_EN: 0
; COMPUTE_PGM_RSRC2:TGID_Z_EN: 0
; COMPUTE_PGM_RSRC2:TIDIG_COMP_CNT: 0
; COMPUTE_PGM_RSRC3_GFX90A:ACCUM_OFFSET: 47
; COMPUTE_PGM_RSRC3_GFX90A:TG_SPLIT: 0
	.text
	.p2alignl 6, 3212836864
	.fill 256, 4, 3212836864
	.type	__hip_cuid_24246bd56ee263e6,@object ; @__hip_cuid_24246bd56ee263e6
	.section	.bss,"aw",@nobits
	.globl	__hip_cuid_24246bd56ee263e6
__hip_cuid_24246bd56ee263e6:
	.byte	0                               ; 0x0
	.size	__hip_cuid_24246bd56ee263e6, 1

	.ident	"AMD clang version 19.0.0git (https://github.com/RadeonOpenCompute/llvm-project roc-6.4.0 25133 c7fe45cf4b819c5991fe208aaa96edf142730f1d)"
	.section	".note.GNU-stack","",@progbits
	.addrsig
	.addrsig_sym __hip_cuid_24246bd56ee263e6
	.amdgpu_metadata
---
amdhsa.kernels:
  - .agpr_count:     0
    .args:
      - .actual_access:  read_only
        .address_space:  global
        .offset:         0
        .size:           8
        .value_kind:     global_buffer
      - .actual_access:  read_only
        .address_space:  global
        .offset:         8
        .size:           8
        .value_kind:     global_buffer
      - .actual_access:  read_only
        .address_space:  global
        .offset:         16
        .size:           8
        .value_kind:     global_buffer
      - .actual_access:  read_only
        .address_space:  global
        .offset:         24
        .size:           8
        .value_kind:     global_buffer
      - .actual_access:  read_only
        .address_space:  global
        .offset:         32
        .size:           8
        .value_kind:     global_buffer
      - .offset:         40
        .size:           8
        .value_kind:     by_value
      - .address_space:  global
        .offset:         48
        .size:           8
        .value_kind:     global_buffer
      - .address_space:  global
        .offset:         56
        .size:           8
        .value_kind:     global_buffer
      - .address_space:  global
        .offset:         64
        .size:           8
        .value_kind:     global_buffer
      - .address_space:  global
        .offset:         72
        .size:           8
        .value_kind:     global_buffer
      - .offset:         80
        .size:           4
        .value_kind:     by_value
      - .address_space:  global
        .offset:         88
        .size:           8
        .value_kind:     global_buffer
      - .address_space:  global
        .offset:         96
        .size:           8
        .value_kind:     global_buffer
    .group_segment_fixed_size: 21296
    .kernarg_segment_align: 8
    .kernarg_segment_size: 104
    .language:       OpenCL C
    .language_version:
      - 2
      - 0
    .max_flat_workgroup_size: 121
    .name:           bluestein_single_fwd_len121_dim1_dp_op_CI_CI
    .private_segment_fixed_size: 0
    .sgpr_count:     46
    .sgpr_spill_count: 0
    .symbol:         bluestein_single_fwd_len121_dim1_dp_op_CI_CI.kd
    .uniform_work_group_size: 1
    .uses_dynamic_stack: false
    .vgpr_count:     192
    .vgpr_spill_count: 0
    .wavefront_size: 64
amdhsa.target:   amdgcn-amd-amdhsa--gfx950
amdhsa.version:
  - 1
  - 2
...

	.end_amdgpu_metadata
